;; amdgpu-corpus repo=ROCm/rocFFT kind=compiled arch=gfx906 opt=O3
	.text
	.amdgcn_target "amdgcn-amd-amdhsa--gfx906"
	.amdhsa_code_object_version 6
	.protected	bluestein_single_back_len561_dim1_sp_op_CI_CI ; -- Begin function bluestein_single_back_len561_dim1_sp_op_CI_CI
	.globl	bluestein_single_back_len561_dim1_sp_op_CI_CI
	.p2align	8
	.type	bluestein_single_back_len561_dim1_sp_op_CI_CI,@function
bluestein_single_back_len561_dim1_sp_op_CI_CI: ; @bluestein_single_back_len561_dim1_sp_op_CI_CI
; %bb.0:
	s_mov_b64 s[26:27], s[2:3]
	v_mul_u32_u24_e32 v1, 0x506, v0
	s_mov_b64 s[24:25], s[0:1]
	s_load_dwordx4 s[0:3], s[4:5], 0x28
	v_lshrrev_b32_e32 v1, 16, v1
	s_add_u32 s24, s24, s7
	v_mad_u64_u32 v[68:69], s[6:7], s6, 5, v[1:2]
	v_mov_b32_e32 v69, 0
	s_addc_u32 s25, s25, 0
	s_waitcnt lgkmcnt(0)
	v_cmp_gt_u64_e32 vcc, s[0:1], v[68:69]
	s_and_saveexec_b64 s[0:1], vcc
	s_cbranch_execz .LBB0_23
; %bb.1:
	s_mov_b32 s0, 0xcccccccd
	v_mul_hi_u32 v2, v68, s0
	v_mul_lo_u16_e32 v1, 51, v1
	s_load_dwordx2 s[8:9], s[4:5], 0x0
	s_load_dwordx2 s[10:11], s[4:5], 0x38
	v_sub_u16_e32 v86, v0, v1
	v_lshrrev_b32_e32 v0, 2, v2
	v_lshl_add_u32 v0, v0, 2, v0
	v_sub_u32_e32 v0, v68, v0
	v_mul_u32_u24_e32 v46, 0x231, v0
	v_cmp_gt_u16_e64 s[0:1], 33, v86
	v_lshlrev_b32_e32 v85, 3, v86
	v_lshlrev_b32_e32 v87, 3, v46
	s_and_saveexec_b64 s[6:7], s[0:1]
	s_cbranch_execz .LBB0_3
; %bb.2:
	s_load_dwordx2 s[12:13], s[4:5], 0x18
	s_waitcnt lgkmcnt(0)
	s_load_dwordx4 s[12:15], s[12:13], 0x0
	s_waitcnt lgkmcnt(0)
	v_mad_u64_u32 v[0:1], s[16:17], s14, v68, 0
	v_mad_u64_u32 v[2:3], s[16:17], s12, v86, 0
	;; [unrolled: 1-line block ×4, first 2 shown]
	v_mov_b32_e32 v1, v4
	v_lshlrev_b64 v[0:1], 3, v[0:1]
	v_mov_b32_e32 v3, v5
	v_mov_b32_e32 v6, s3
	v_lshlrev_b64 v[2:3], 3, v[2:3]
	v_add_co_u32_e32 v0, vcc, s2, v0
	v_addc_co_u32_e32 v1, vcc, v6, v1, vcc
	v_add_co_u32_e32 v0, vcc, v0, v2
	v_addc_co_u32_e32 v1, vcc, v1, v3, vcc
	v_mov_b32_e32 v2, s9
	v_add_co_u32_e32 v67, vcc, s8, v85
	s_mul_i32 s2, s13, 0x108
	s_mul_hi_u32 s3, s12, 0x108
	v_addc_co_u32_e32 v70, vcc, 0, v2, vcc
	s_add_i32 s2, s3, s2
	s_mul_i32 s3, s12, 0x108
	v_mov_b32_e32 v3, s2
	v_add_co_u32_e32 v2, vcc, s3, v0
	v_addc_co_u32_e32 v3, vcc, v1, v3, vcc
	v_mov_b32_e32 v5, s2
	v_add_co_u32_e32 v4, vcc, s3, v2
	v_addc_co_u32_e32 v5, vcc, v3, v5, vcc
	v_mov_b32_e32 v13, s2
	v_add_co_u32_e32 v12, vcc, s3, v4
	v_addc_co_u32_e32 v13, vcc, v5, v13, vcc
	global_load_dwordx2 v[6:7], v85, s[8:9]
	global_load_dwordx2 v[8:9], v85, s[8:9] offset:264
	global_load_dwordx2 v[10:11], v85, s[8:9] offset:528
	global_load_dwordx2 v[14:15], v[0:1], off
	global_load_dwordx2 v[16:17], v[2:3], off
	;; [unrolled: 1-line block ×4, first 2 shown]
	v_mov_b32_e32 v1, s2
	v_add_co_u32_e32 v0, vcc, s3, v12
	v_addc_co_u32_e32 v1, vcc, v13, v1, vcc
	global_load_dwordx2 v[2:3], v[0:1], off
	v_mov_b32_e32 v4, s2
	v_add_co_u32_e32 v0, vcc, s3, v0
	v_addc_co_u32_e32 v1, vcc, v1, v4, vcc
	global_load_dwordx2 v[4:5], v[0:1], off
	v_mov_b32_e32 v12, s2
	v_add_co_u32_e32 v0, vcc, s3, v0
	v_addc_co_u32_e32 v1, vcc, v1, v12, vcc
	global_load_dwordx2 v[12:13], v[0:1], off
	global_load_dwordx2 v[22:23], v85, s[8:9] offset:792
	global_load_dwordx2 v[24:25], v85, s[8:9] offset:1056
	global_load_dwordx2 v[26:27], v85, s[8:9] offset:1320
	global_load_dwordx2 v[28:29], v85, s[8:9] offset:1584
	v_mov_b32_e32 v30, s2
	v_add_co_u32_e32 v0, vcc, s3, v0
	v_addc_co_u32_e32 v1, vcc, v1, v30, vcc
	global_load_dwordx2 v[30:31], v[0:1], off
	v_mov_b32_e32 v32, s2
	v_add_co_u32_e32 v0, vcc, s3, v0
	v_addc_co_u32_e32 v1, vcc, v1, v32, vcc
	global_load_dwordx2 v[32:33], v[0:1], off
	v_mov_b32_e32 v34, s2
	v_add_co_u32_e32 v0, vcc, s3, v0
	v_addc_co_u32_e32 v1, vcc, v1, v34, vcc
	global_load_dwordx2 v[34:35], v[0:1], off
	v_mov_b32_e32 v36, s2
	v_add_co_u32_e32 v0, vcc, s3, v0
	v_addc_co_u32_e32 v1, vcc, v1, v36, vcc
	global_load_dwordx2 v[36:37], v[0:1], off
	global_load_dwordx2 v[38:39], v85, s[8:9] offset:1848
	global_load_dwordx2 v[40:41], v85, s[8:9] offset:2112
	global_load_dwordx2 v[42:43], v85, s[8:9] offset:2376
	global_load_dwordx2 v[44:45], v85, s[8:9] offset:2640
	v_mov_b32_e32 v47, s2
	v_add_co_u32_e32 v0, vcc, s3, v0
	v_addc_co_u32_e32 v1, vcc, v1, v47, vcc
	global_load_dwordx2 v[47:48], v[0:1], off
	v_mov_b32_e32 v49, s2
	v_add_co_u32_e32 v0, vcc, s3, v0
	v_addc_co_u32_e32 v1, vcc, v1, v49, vcc
	global_load_dwordx2 v[49:50], v[0:1], off
	v_mov_b32_e32 v51, s2
	v_add_co_u32_e32 v0, vcc, s3, v0
	v_addc_co_u32_e32 v1, vcc, v1, v51, vcc
	global_load_dwordx2 v[51:52], v[0:1], off
	v_mov_b32_e32 v53, s2
	v_add_co_u32_e32 v0, vcc, s3, v0
	v_addc_co_u32_e32 v1, vcc, v1, v53, vcc
	global_load_dwordx2 v[53:54], v[0:1], off
	global_load_dwordx2 v[55:56], v85, s[8:9] offset:2904
	global_load_dwordx2 v[57:58], v85, s[8:9] offset:3168
	global_load_dwordx2 v[59:60], v85, s[8:9] offset:3432
	global_load_dwordx2 v[61:62], v85, s[8:9] offset:3696
	v_mov_b32_e32 v63, s2
	v_add_co_u32_e32 v0, vcc, s3, v0
	v_addc_co_u32_e32 v1, vcc, v1, v63, vcc
	global_load_dwordx2 v[63:64], v[0:1], off
	global_load_dwordx2 v[65:66], v85, s[8:9] offset:3960
	v_mov_b32_e32 v69, s2
	v_add_co_u32_e32 v0, vcc, s3, v0
	v_addc_co_u32_e32 v1, vcc, v1, v69, vcc
	v_add_co_u32_e32 v69, vcc, 0x1000, v67
	v_addc_co_u32_e32 v70, vcc, 0, v70, vcc
	global_load_dwordx2 v[0:1], v[0:1], off
	s_waitcnt vmcnt(29)
	v_mul_f32_e32 v71, v15, v7
	global_load_dwordx2 v[69:70], v[69:70], off offset:128
	v_mul_f32_e32 v7, v14, v7
	v_fmac_f32_e32 v71, v14, v6
	v_fma_f32 v72, v15, v6, -v7
	s_waitcnt vmcnt(29)
	v_mul_f32_e32 v6, v17, v9
	v_mul_f32_e32 v7, v16, v9
	v_fmac_f32_e32 v6, v16, v8
	v_fma_f32 v7, v17, v8, -v7
	s_waitcnt vmcnt(28)
	v_mul_f32_e32 v8, v19, v11
	v_mul_f32_e32 v9, v18, v11
	v_lshl_add_u32 v67, v86, 3, v87
	v_add_u32_e32 v14, v87, v85
	v_fmac_f32_e32 v8, v18, v10
	v_fma_f32 v9, v19, v10, -v9
	ds_write_b64 v67, v[71:72]
	ds_write2_b64 v14, v[6:7], v[8:9] offset0:33 offset1:66
	s_waitcnt vmcnt(22)
	v_mul_f32_e32 v8, v3, v25
	v_fmac_f32_e32 v8, v2, v24
	v_mul_f32_e32 v2, v2, v25
	v_fma_f32 v9, v3, v24, -v2
	s_waitcnt vmcnt(21)
	v_mul_f32_e32 v2, v5, v27
	v_mul_f32_e32 v3, v4, v27
	v_fmac_f32_e32 v2, v4, v26
	v_fma_f32 v3, v5, v26, -v3
	s_waitcnt vmcnt(20)
	v_mul_f32_e32 v4, v13, v29
	v_mul_f32_e32 v5, v12, v29
	;; [unrolled: 1-line block ×4, first 2 shown]
	v_fmac_f32_e32 v4, v12, v28
	v_fma_f32 v5, v13, v28, -v5
	v_fmac_f32_e32 v6, v20, v22
	v_fma_f32 v7, v21, v22, -v7
	ds_write2_b64 v14, v[2:3], v[4:5] offset0:165 offset1:198
	ds_write2_b64 v14, v[6:7], v[8:9] offset0:99 offset1:132
	v_add_u32_e32 v6, 0x400, v14
	s_waitcnt vmcnt(15)
	v_mul_f32_e32 v2, v31, v39
	v_mul_f32_e32 v3, v30, v39
	s_waitcnt vmcnt(14)
	v_mul_f32_e32 v4, v33, v41
	v_mul_f32_e32 v5, v32, v41
	v_fmac_f32_e32 v2, v30, v38
	v_fma_f32 v3, v31, v38, -v3
	v_fmac_f32_e32 v4, v32, v40
	v_fma_f32 v5, v33, v40, -v5
	ds_write2_b64 v6, v[2:3], v[4:5] offset0:103 offset1:136
	s_waitcnt vmcnt(13)
	v_mul_f32_e32 v2, v35, v43
	v_mul_f32_e32 v3, v34, v43
	s_waitcnt vmcnt(12)
	v_mul_f32_e32 v4, v37, v45
	v_mul_f32_e32 v5, v36, v45
	v_fmac_f32_e32 v2, v34, v42
	v_fma_f32 v3, v35, v42, -v3
	v_fmac_f32_e32 v4, v36, v44
	v_fma_f32 v5, v37, v44, -v5
	v_add_u32_e32 v6, 0x800, v14
	ds_write2_b64 v6, v[2:3], v[4:5] offset0:41 offset1:74
	s_waitcnt vmcnt(7)
	v_mul_f32_e32 v2, v48, v56
	v_mul_f32_e32 v3, v47, v56
	s_waitcnt vmcnt(6)
	v_mul_f32_e32 v4, v50, v58
	v_mul_f32_e32 v5, v49, v58
	v_fmac_f32_e32 v2, v47, v55
	v_fma_f32 v3, v48, v55, -v3
	v_fmac_f32_e32 v4, v49, v57
	v_fma_f32 v5, v50, v57, -v5
	ds_write2_b64 v6, v[2:3], v[4:5] offset0:107 offset1:140
	s_waitcnt vmcnt(5)
	v_mul_f32_e32 v2, v52, v60
	v_mul_f32_e32 v3, v51, v60
	s_waitcnt vmcnt(4)
	v_mul_f32_e32 v4, v54, v62
	v_mul_f32_e32 v5, v53, v62
	v_fmac_f32_e32 v2, v51, v59
	v_fma_f32 v3, v52, v59, -v3
	v_fmac_f32_e32 v4, v53, v61
	v_fma_f32 v5, v54, v61, -v5
	ds_write2_b64 v6, v[2:3], v[4:5] offset0:173 offset1:206
	s_waitcnt vmcnt(2)
	v_mul_f32_e32 v2, v64, v66
	v_mul_f32_e32 v3, v63, v66
	v_fmac_f32_e32 v2, v63, v65
	s_waitcnt vmcnt(0)
	v_mul_f32_e32 v4, v1, v70
	v_fmac_f32_e32 v4, v0, v69
	v_mul_f32_e32 v0, v0, v70
	v_fma_f32 v3, v64, v65, -v3
	v_fma_f32 v5, v1, v69, -v0
	v_add_u32_e32 v0, 0xc00, v14
	ds_write2_b64 v0, v[2:3], v[4:5] offset0:111 offset1:144
.LBB0_3:
	s_or_b64 exec, exec, s[6:7]
	v_mov_b32_e32 v4, 0
	v_mov_b32_e32 v5, 0
	s_waitcnt lgkmcnt(0)
	s_barrier
	s_waitcnt lgkmcnt(0)
                                        ; implicit-def: $vgpr10
                                        ; implicit-def: $vgpr12
                                        ; implicit-def: $vgpr28
                                        ; implicit-def: $vgpr32
                                        ; implicit-def: $vgpr36
                                        ; implicit-def: $vgpr26
                                        ; implicit-def: $vgpr22
                                        ; implicit-def: $vgpr18
	s_and_saveexec_b64 s[2:3], s[0:1]
	s_cbranch_execz .LBB0_5
; %bb.4:
	v_lshl_add_u32 v0, v46, 3, v85
	v_add_u32_e32 v1, 0x800, v0
	ds_read2_b64 v[4:7], v0 offset1:33
	ds_read2_b64 v[16:19], v0 offset0:66 offset1:99
	ds_read2_b64 v[20:23], v0 offset0:132 offset1:165
	;; [unrolled: 1-line block ×7, first 2 shown]
	ds_read_b64 v[36:37], v0 offset:4224
.LBB0_5:
	s_or_b64 exec, exec, s[2:3]
	s_waitcnt lgkmcnt(0)
	v_sub_f32_e32 v39, v7, v37
	v_mul_f32_e32 v47, 0xbeb8f4ab, v39
	v_sub_f32_e32 v120, v17, v35
	v_add_f32_e32 v93, v36, v6
	v_sub_f32_e32 v38, v6, v36
	v_mov_b32_e32 v0, v47
	v_mul_f32_e32 v51, 0xbf2c7751, v120
	v_add_f32_e32 v94, v37, v7
	s_mov_b32 s12, 0x3f6eb680
	v_mul_f32_e32 v48, 0xbeb8f4ab, v38
	v_fmac_f32_e32 v0, 0x3f6eb680, v93
	v_add_f32_e32 v98, v34, v16
	v_sub_f32_e32 v88, v16, v34
	v_mov_b32_e32 v42, v51
	v_add_f32_e32 v0, v0, v4
	v_fma_f32 v1, v94, s12, -v48
	s_mov_b32 s6, 0x3f3d2fb0
	v_mul_f32_e32 v49, 0xbf2c7751, v39
	v_add_f32_e32 v99, v35, v17
	v_mul_f32_e32 v53, 0xbf2c7751, v88
	v_fmac_f32_e32 v42, 0x3f3d2fb0, v98
	v_add_f32_e32 v1, v1, v5
	v_mov_b32_e32 v2, v49
	v_add_f32_e32 v0, v42, v0
	v_fma_f32 v42, v99, s6, -v53
	v_mul_f32_e32 v55, 0xbf7ee86f, v120
	v_mul_f32_e32 v50, 0xbf2c7751, v38
	v_fmac_f32_e32 v2, 0x3f3d2fb0, v93
	v_add_f32_e32 v1, v42, v1
	v_mov_b32_e32 v42, v55
	v_add_f32_e32 v2, v2, v4
	v_fma_f32 v3, v94, s6, -v50
	v_mul_f32_e32 v52, 0xbf65296c, v39
	s_mov_b32 s2, 0x3dbcf732
	v_mul_f32_e32 v56, 0xbf7ee86f, v88
	v_fmac_f32_e32 v42, 0x3dbcf732, v98
	v_add_f32_e32 v3, v3, v5
	v_mov_b32_e32 v40, v52
	v_add_f32_e32 v2, v42, v2
	v_fma_f32 v42, v99, s2, -v56
	v_mul_f32_e32 v59, 0xbf4c4adb, v120
	s_mov_b32 s3, 0x3ee437d1
	v_mul_f32_e32 v54, 0xbf65296c, v38
	v_fmac_f32_e32 v40, 0x3ee437d1, v93
	v_add_f32_e32 v3, v42, v3
	v_mov_b32_e32 v42, v59
	v_add_f32_e32 v40, v40, v4
	v_fma_f32 v41, v94, s3, -v54
	s_mov_b32 s13, 0xbf1a4643
	v_mul_f32_e32 v60, 0xbf4c4adb, v88
	v_fmac_f32_e32 v42, 0xbf1a4643, v98
	v_sub_f32_e32 v138, v19, v33
	v_add_f32_e32 v41, v41, v5
	v_add_f32_e32 v40, v42, v40
	v_fma_f32 v42, v99, s13, -v60
	v_mul_f32_e32 v57, 0xbf65296c, v138
	v_add_f32_e32 v41, v42, v41
	v_add_f32_e32 v109, v32, v18
	v_sub_f32_e32 v136, v18, v32
	v_mov_b32_e32 v42, v57
	v_add_f32_e32 v110, v33, v19
	v_mul_f32_e32 v58, 0xbf65296c, v136
	v_fmac_f32_e32 v42, 0x3ee437d1, v109
	v_add_f32_e32 v0, v42, v0
	v_fma_f32 v42, v110, s3, -v58
	v_mul_f32_e32 v61, 0xbf4c4adb, v138
	v_add_f32_e32 v1, v42, v1
	v_mov_b32_e32 v42, v61
	v_mul_f32_e32 v62, 0xbf4c4adb, v136
	v_fmac_f32_e32 v42, 0xbf1a4643, v109
	v_add_f32_e32 v2, v42, v2
	v_fma_f32 v42, v110, s13, -v62
	v_mul_f32_e32 v65, 0x3e3c28d5, v138
	v_add_f32_e32 v3, v42, v3
	v_mov_b32_e32 v42, v65
	s_mov_b32 s15, 0xbf7ba420
	v_mul_f32_e32 v66, 0x3e3c28d5, v136
	v_fmac_f32_e32 v42, 0xbf7ba420, v109
	v_sub_f32_e32 v145, v21, v31
	v_add_f32_e32 v40, v42, v40
	v_fma_f32 v42, v110, s15, -v66
	v_mul_f32_e32 v63, 0xbf7ee86f, v145
	v_add_f32_e32 v41, v42, v41
	v_add_f32_e32 v100, v30, v20
	v_sub_f32_e32 v143, v20, v30
	v_mov_b32_e32 v42, v63
	v_add_f32_e32 v101, v31, v21
	v_mul_f32_e32 v64, 0xbf7ee86f, v143
	v_fmac_f32_e32 v42, 0x3dbcf732, v100
	v_add_f32_e32 v0, v42, v0
	v_fma_f32 v42, v101, s2, -v64
	v_mul_f32_e32 v67, 0xbe3c28d5, v145
	v_add_f32_e32 v1, v42, v1
	v_mov_b32_e32 v42, v67
	v_mul_f32_e32 v73, 0xbe3c28d5, v143
	v_fmac_f32_e32 v42, 0xbf7ba420, v100
	v_add_f32_e32 v2, v42, v2
	v_fma_f32 v42, v101, s15, -v73
	v_mul_f32_e32 v76, 0x3f763a35, v145
	v_add_f32_e32 v3, v42, v3
	v_mov_b32_e32 v42, v76
	s_mov_b32 s7, 0xbe8c1d8e
	v_mul_f32_e32 v77, 0x3f763a35, v143
	v_fmac_f32_e32 v42, 0xbe8c1d8e, v100
	v_sub_f32_e32 v191, v23, v29
	v_add_f32_e32 v40, v42, v40
	v_fma_f32 v42, v101, s7, -v77
	v_mul_f32_e32 v74, 0xbf763a35, v191
	v_add_f32_e32 v41, v42, v41
	v_add_f32_e32 v105, v28, v22
	v_sub_f32_e32 v190, v22, v28
	v_mov_b32_e32 v42, v74
	v_add_f32_e32 v107, v29, v23
	v_mul_f32_e32 v75, 0xbf763a35, v190
	v_fmac_f32_e32 v42, 0xbe8c1d8e, v105
	v_add_f32_e32 v0, v42, v0
	v_fma_f32 v42, v107, s7, -v75
	v_mul_f32_e32 v78, 0x3f06c442, v191
	v_add_f32_e32 v1, v42, v1
	v_mov_b32_e32 v42, v78
	s_mov_b32 s14, 0xbf59a7d5
	v_mul_f32_e32 v79, 0x3f06c442, v190
	v_fmac_f32_e32 v42, 0xbf59a7d5, v105
	v_sub_f32_e32 v198, v25, v15
	v_add_f32_e32 v2, v42, v2
	v_fma_f32 v42, v107, s14, -v79
	v_mul_f32_e32 v80, 0xbf4c4adb, v198
	v_add_f32_e32 v3, v42, v3
	v_add_f32_e32 v114, v14, v24
	v_sub_f32_e32 v197, v24, v14
	v_mov_b32_e32 v42, v80
	v_add_f32_e32 v115, v15, v25
	v_mul_f32_e32 v81, 0xbf4c4adb, v197
	v_fmac_f32_e32 v42, 0xbf1a4643, v114
	v_add_f32_e32 v0, v42, v0
	v_fma_f32 v42, v115, s13, -v81
	v_mul_f32_e32 v82, 0x3f763a35, v198
	v_add_f32_e32 v1, v42, v1
	v_mov_b32_e32 v42, v82
	v_mul_f32_e32 v83, 0x3f763a35, v197
	v_fmac_f32_e32 v42, 0xbe8c1d8e, v114
	v_sub_f32_e32 v200, v27, v13
	v_add_f32_e32 v2, v42, v2
	v_fma_f32 v42, v115, s7, -v83
	v_mul_f32_e32 v84, 0xbf06c442, v200
	v_add_f32_e32 v3, v42, v3
	v_add_f32_e32 v117, v12, v26
	v_sub_f32_e32 v199, v26, v12
	v_mov_b32_e32 v42, v84
	v_add_f32_e32 v119, v13, v27
	v_mul_f32_e32 v89, 0xbf06c442, v199
	v_fmac_f32_e32 v42, 0xbf59a7d5, v117
	v_add_f32_e32 v0, v42, v0
	v_fma_f32 v42, v119, s14, -v89
	v_mul_f32_e32 v90, 0x3f65296c, v200
	v_add_f32_e32 v1, v42, v1
	v_mov_b32_e32 v42, v90
	;; [unrolled: 18-line block ×3, first 2 shown]
	v_fmac_f32_e32 v0, 0x3f6eb680, v131
	v_mul_f32_e32 v102, 0x3f2c7751, v191
	v_add_f32_e32 v0, v0, v42
	v_mov_b32_e32 v42, v102
	v_fmac_f32_e32 v42, 0x3f3d2fb0, v105
	v_mul_f32_e32 v108, 0x3f2c7751, v190
	v_add_f32_e32 v40, v42, v40
	v_fma_f32 v42, v107, s6, -v108
	v_mul_f32_e32 v103, 0xbeb8f4ab, v198
	v_add_f32_e32 v41, v42, v41
	v_mov_b32_e32 v42, v103
	v_fmac_f32_e32 v42, 0x3f6eb680, v114
	v_mul_f32_e32 v111, 0xbeb8f4ab, v197
	v_add_f32_e32 v40, v42, v40
	v_fma_f32 v42, v115, s12, -v111
	v_mul_f32_e32 v104, 0xbf7ee86f, v200
	v_add_f32_e32 v41, v42, v41
	v_mov_b32_e32 v42, v104
	v_fmac_f32_e32 v42, 0x3dbcf732, v117
	v_mul_f32_e32 v112, 0xbf7ee86f, v199
	v_add_f32_e32 v40, v42, v40
	v_fma_f32 v42, v119, s2, -v112
	v_mul_f32_e32 v106, 0xbf06c442, v202
	v_add_f32_e32 v41, v42, v41
	v_mov_b32_e32 v42, v106
	v_mul_f32_e32 v97, 0x3eb8f4ab, v201
	v_fmac_f32_e32 v42, 0xbf59a7d5, v131
	v_mul_f32_e32 v113, 0xbf06c442, v201
	v_fma_f32 v1, v132, s12, -v97
	v_add_f32_e32 v42, v42, v40
	v_fma_f32 v40, v132, s14, -v113
	v_mul_f32_e32 v116, 0xbf7ee86f, v39
	v_add_f32_e32 v1, v1, v43
	v_add_f32_e32 v43, v40, v41
	v_mov_b32_e32 v40, v116
	v_mul_f32_e32 v118, 0xbe3c28d5, v120
	v_fmac_f32_e32 v40, 0x3dbcf732, v93
	v_mov_b32_e32 v41, v118
	v_add_f32_e32 v40, v40, v4
	v_fmac_f32_e32 v41, 0xbf7ba420, v98
	v_mul_f32_e32 v124, 0xbf7ee86f, v38
	v_add_f32_e32 v40, v41, v40
	v_fma_f32 v41, v94, s2, -v124
	v_mul_f32_e32 v125, 0xbe3c28d5, v88
	v_add_f32_e32 v41, v41, v5
	v_fma_f32 v44, v99, s15, -v125
	v_mul_f32_e32 v121, 0x3f763a35, v138
	v_add_f32_e32 v41, v44, v41
	v_mov_b32_e32 v44, v121
	v_fmac_f32_e32 v44, 0xbe8c1d8e, v109
	v_mul_f32_e32 v127, 0x3f763a35, v136
	v_add_f32_e32 v40, v44, v40
	v_fma_f32 v44, v110, s7, -v127
	v_mul_f32_e32 v122, 0x3eb8f4ab, v145
	v_add_f32_e32 v41, v44, v41
	v_mov_b32_e32 v44, v122
	v_fmac_f32_e32 v44, 0x3f6eb680, v100
	v_mul_f32_e32 v129, 0x3eb8f4ab, v143
	v_add_f32_e32 v40, v44, v40
	v_fma_f32 v44, v101, s12, -v129
	v_mul_f32_e32 v123, 0xbf65296c, v191
	v_add_f32_e32 v41, v44, v41
	v_mov_b32_e32 v44, v123
	v_fmac_f32_e32 v44, 0x3ee437d1, v105
	v_mul_f32_e32 v133, 0xbf65296c, v190
	v_add_f32_e32 v40, v44, v40
	v_fma_f32 v44, v107, s3, -v133
	v_mul_f32_e32 v126, 0xbf06c442, v198
	v_add_f32_e32 v41, v44, v41
	v_mov_b32_e32 v44, v126
	v_fmac_f32_e32 v44, 0xbf59a7d5, v114
	v_mul_f32_e32 v134, 0xbf06c442, v197
	v_add_f32_e32 v40, v44, v40
	v_fma_f32 v44, v115, s14, -v134
	v_mul_f32_e32 v128, 0x3f4c4adb, v200
	v_add_f32_e32 v41, v44, v41
	v_mov_b32_e32 v44, v128
	v_fmac_f32_e32 v44, 0xbf1a4643, v117
	v_mul_f32_e32 v135, 0x3f4c4adb, v199
	v_add_f32_e32 v40, v44, v40
	v_fma_f32 v44, v119, s13, -v135
	v_mul_f32_e32 v130, 0x3f2c7751, v202
	v_add_f32_e32 v41, v44, v41
	v_mov_b32_e32 v44, v130
	v_fmac_f32_e32 v44, 0x3f3d2fb0, v131
	v_mul_f32_e32 v137, 0x3f2c7751, v201
	v_add_f32_e32 v69, v44, v40
	v_fma_f32 v40, v132, s6, -v137
	v_mul_f32_e32 v139, 0xbf763a35, v39
	v_add_f32_e32 v70, v40, v41
	v_mov_b32_e32 v40, v139
	v_mul_f32_e32 v140, 0x3f06c442, v120
	v_fmac_f32_e32 v40, 0xbe8c1d8e, v93
	v_mov_b32_e32 v41, v140
	v_add_f32_e32 v40, v40, v4
	v_fmac_f32_e32 v41, 0xbf59a7d5, v98
	v_mul_f32_e32 v146, 0xbf763a35, v38
	v_add_f32_e32 v40, v41, v40
	v_fma_f32 v41, v94, s7, -v146
	v_mul_f32_e32 v147, 0x3f06c442, v88
	v_add_f32_e32 v41, v41, v5
	v_fma_f32 v44, v99, s14, -v147
	v_mul_f32_e32 v141, 0x3f2c7751, v138
	v_add_f32_e32 v41, v44, v41
	v_mov_b32_e32 v44, v141
	v_fmac_f32_e32 v44, 0x3f3d2fb0, v109
	v_mul_f32_e32 v149, 0x3f2c7751, v136
	v_add_f32_e32 v40, v44, v40
	v_fma_f32 v44, v110, s6, -v149
	v_mul_f32_e32 v142, 0xbf65296c, v145
	v_add_f32_e32 v41, v44, v41
	v_mov_b32_e32 v44, v142
	v_fmac_f32_e32 v44, 0x3ee437d1, v100
	v_mul_f32_e32 v151, 0xbf65296c, v143
	v_add_f32_e32 v40, v44, v40
	v_fma_f32 v44, v101, s3, -v151
	v_mul_f32_e32 v144, 0xbe3c28d5, v191
	v_add_f32_e32 v41, v44, v41
	v_mov_b32_e32 v44, v144
	v_fmac_f32_e32 v44, 0xbf7ba420, v105
	v_mul_f32_e32 v153, 0xbe3c28d5, v190
	v_add_f32_e32 v40, v44, v40
	v_fma_f32 v44, v107, s15, -v153
	v_mul_f32_e32 v148, 0x3f7ee86f, v198
	v_add_f32_e32 v41, v44, v41
	v_mov_b32_e32 v44, v148
	v_fmac_f32_e32 v44, 0x3dbcf732, v114
	v_mul_f32_e32 v154, 0x3f7ee86f, v197
	v_add_f32_e32 v40, v44, v40
	v_fma_f32 v44, v115, s2, -v154
	v_mul_f32_e32 v150, 0xbeb8f4ab, v200
	v_add_f32_e32 v41, v44, v41
	v_mov_b32_e32 v44, v150
	v_fmac_f32_e32 v44, 0x3f6eb680, v117
	v_mul_f32_e32 v155, 0xbeb8f4ab, v199
	v_add_f32_e32 v40, v44, v40
	v_fma_f32 v44, v119, s12, -v155
	v_mul_f32_e32 v152, 0xbf4c4adb, v202
	v_add_f32_e32 v41, v44, v41
	v_mov_b32_e32 v44, v152
	v_fmac_f32_e32 v44, 0xbf1a4643, v131
	v_mul_f32_e32 v156, 0xbf4c4adb, v201
	v_add_f32_e32 v71, v44, v40
	v_fma_f32 v40, v132, s13, -v156
	v_mul_f32_e32 v157, 0xbf4c4adb, v39
	;; [unrolled: 56-line block ×3, first 2 shown]
	v_add_f32_e32 v41, v44, v41
	v_mov_b32_e32 v44, v173
	v_mul_f32_e32 v174, 0x3f65296c, v120
	v_fmac_f32_e32 v44, 0xbf59a7d5, v93
	v_mov_b32_e32 v45, v174
	v_add_f32_e32 v44, v44, v4
	v_fmac_f32_e32 v45, 0x3ee437d1, v98
	v_mul_f32_e32 v181, 0xbf06c442, v38
	v_add_f32_e32 v44, v45, v44
	v_fma_f32 v45, v94, s14, -v181
	v_mul_f32_e32 v182, 0x3f65296c, v88
	v_add_f32_e32 v45, v45, v5
	v_fma_f32 v175, v99, s3, -v182
	v_add_f32_e32 v45, v175, v45
	v_mul_f32_e32 v175, 0xbf7ee86f, v138
	v_mov_b32_e32 v176, v175
	v_fmac_f32_e32 v176, 0x3dbcf732, v109
	v_mul_f32_e32 v183, 0xbf7ee86f, v136
	v_add_f32_e32 v44, v176, v44
	v_fma_f32 v176, v110, s2, -v183
	v_add_f32_e32 v45, v176, v45
	v_mul_f32_e32 v176, 0x3f4c4adb, v145
	v_mov_b32_e32 v177, v176
	v_fmac_f32_e32 v177, 0xbf1a4643, v100
	;; [unrolled: 7-line block ×6, first 2 shown]
	v_add_f32_e32 v44, v188, v44
	v_mul_f32_e32 v188, 0xbf763a35, v201
	v_fma_f32 v189, v132, s7, -v188
	v_add_f32_e32 v45, v189, v45
	v_mul_f32_e32 v189, 0xbe3c28d5, v39
	v_mov_b32_e32 v39, v189
	v_mul_f32_e32 v120, 0x3eb8f4ab, v120
	v_fmac_f32_e32 v39, 0xbf7ba420, v93
	v_mov_b32_e32 v192, v120
	v_add_f32_e32 v39, v39, v4
	v_fmac_f32_e32 v192, 0x3f6eb680, v98
	v_add_f32_e32 v39, v192, v39
	v_mul_f32_e32 v192, 0xbe3c28d5, v38
	v_fma_f32 v38, v94, s15, -v192
	v_mul_f32_e32 v193, 0x3eb8f4ab, v88
	v_add_f32_e32 v38, v38, v5
	v_fma_f32 v88, v99, s12, -v193
	v_mul_f32_e32 v138, 0xbf06c442, v138
	v_add_f32_e32 v38, v88, v38
	v_mov_b32_e32 v88, v138
	v_fmac_f32_e32 v88, 0xbf59a7d5, v109
	v_mul_f32_e32 v194, 0xbf06c442, v136
	v_add_f32_e32 v39, v88, v39
	v_fma_f32 v88, v110, s14, -v194
	v_mul_f32_e32 v136, 0x3f2c7751, v145
	v_add_f32_e32 v38, v88, v38
	v_mov_b32_e32 v88, v136
	v_fmac_f32_e32 v88, 0x3f3d2fb0, v100
	;; [unrolled: 7-line block ×5, first 2 shown]
	v_mul_f32_e32 v198, 0xbf763a35, v199
	v_add_f32_e32 v39, v88, v39
	v_fma_f32 v88, v119, s7, -v198
	v_mul_f32_e32 v191, 0x3f7ee86f, v202
	s_load_dwordx2 s[6:7], s[4:5], 0x20
	s_load_dwordx2 s[12:13], s[4:5], 0x8
	v_add_f32_e32 v88, v88, v38
	v_mov_b32_e32 v38, v191
	v_mul_f32_e32 v199, 0x3f7ee86f, v201
	v_fmac_f32_e32 v38, 0x3dbcf732, v131
	v_add_f32_e32 v38, v38, v39
	v_fma_f32 v39, v132, s2, -v199
	v_add_f32_e32 v39, v39, v88
	v_mul_lo_u16_e32 v215, 17, v86
	s_waitcnt lgkmcnt(0)
	s_barrier
	s_and_saveexec_b64 s[2:3], s[0:1]
	s_cbranch_execz .LBB0_7
; %bb.6:
	v_mul_f32_e32 v201, 0x3f6eb680, v94
	v_mul_f32_e32 v203, 0x3f3d2fb0, v94
	;; [unrolled: 1-line block ×8, first 2 shown]
	v_mov_b32_e32 v200, v51
	v_mov_b32_e32 v51, v47
	v_mul_f32_e32 v47, 0x3f3d2fb0, v99
	v_mul_f32_e32 v217, 0x3dbcf732, v99
	;; [unrolled: 1-line block ×8, first 2 shown]
	v_add_f32_e32 v94, v192, v94
	v_mul_f32_e32 v229, 0x3ee437d1, v110
	v_mul_f32_e32 v231, 0xbf1a4643, v110
	;; [unrolled: 1-line block ×8, first 2 shown]
	v_add_f32_e32 v99, v193, v99
	v_add_f32_e32 v94, v94, v5
	v_mul_f32_e32 v243, 0x3dbcf732, v101
	v_mul_f32_e32 v245, 0xbf7ba420, v101
	;; [unrolled: 1-line block ×8, first 2 shown]
	v_add_f32_e32 v94, v99, v94
	v_add_f32_e32 v99, v194, v110
	;; [unrolled: 1-line block ×5, first 2 shown]
	v_mul_f32_e32 v99, 0xbf1a4643, v107
	v_mul_f32_e32 v88, 0x3f6eb680, v93
	;; [unrolled: 1-line block ×9, first 2 shown]
	v_add_f32_e32 v99, v196, v99
	v_mul_f32_e32 v214, 0x3f3d2fb0, v98
	v_mul_f32_e32 v216, 0x3dbcf732, v98
	;; [unrolled: 1-line block ×8, first 2 shown]
	v_add_f32_e32 v94, v99, v94
	v_mul_f32_e32 v99, 0x3ee437d1, v115
	v_sub_f32_e32 v93, v93, v189
	v_mul_f32_e32 v228, 0x3ee437d1, v109
	v_mul_f32_e32 v230, 0xbf1a4643, v109
	;; [unrolled: 1-line block ×8, first 2 shown]
	v_add_f32_e32 v99, v197, v99
	v_sub_f32_e32 v98, v98, v120
	v_add_f32_e32 v93, v93, v4
	v_mul_f32_e32 v242, 0x3dbcf732, v100
	v_mul_f32_e32 v244, 0xbf7ba420, v100
	;; [unrolled: 1-line block ×8, first 2 shown]
	v_add_f32_e32 v94, v99, v94
	v_mul_f32_e32 v99, 0xbe8c1d8e, v119
	v_add_f32_e32 v93, v98, v93
	v_sub_f32_e32 v98, v109, v138
	v_mul_f32_e32 v254, 0xbe8c1d8e, v105
	v_mul_f32_e32 v255, 0xbf59a7d5, v105
	;; [unrolled: 1-line block ×3, first 2 shown]
	v_add_f32_e32 v99, v198, v99
	v_mul_f32_e32 v198, 0x3ee437d1, v105
	v_mul_f32_e32 v189, 0xbf7ba420, v105
	;; [unrolled: 1-line block ×3, first 2 shown]
	v_add_f32_e32 v93, v98, v93
	v_mul_f32_e32 v98, 0x3f6eb680, v105
	v_mul_f32_e32 v105, 0xbf1a4643, v105
	v_sub_f32_e32 v100, v100, v136
	v_add_f32_e32 v93, v100, v93
	v_sub_f32_e32 v100, v105, v143
	v_add_f32_e32 v93, v100, v93
	v_mul_f32_e32 v100, 0x3ee437d1, v114
	v_sub_f32_e32 v100, v100, v145
	v_add_f32_e32 v93, v100, v93
	v_mul_f32_e32 v100, 0xbe8c1d8e, v117
	v_add_f32_e32 v54, v54, v205
	v_sub_f32_e32 v100, v100, v190
	v_sub_f32_e32 v173, v212, v173
	v_add_f32_e32 v54, v54, v5
	v_add_f32_e32 v60, v60, v219
	;; [unrolled: 1-line block ×3, first 2 shown]
	v_mul_f32_e32 v99, 0x3dbcf732, v132
	v_add_f32_e32 v93, v100, v93
	v_mul_f32_e32 v100, 0x3dbcf732, v131
	v_sub_f32_e32 v174, v226, v174
	v_add_f32_e32 v173, v173, v4
	v_add_f32_e32 v54, v60, v54
	;; [unrolled: 1-line block ×3, first 2 shown]
	v_mul_f32_e32 v197, 0x3f3d2fb0, v107
	v_add_f32_e32 v99, v199, v99
	v_sub_f32_e32 v100, v100, v191
	v_add_f32_e32 v173, v174, v173
	v_sub_f32_e32 v175, v240, v175
	v_add_f32_e32 v54, v60, v54
	v_add_f32_e32 v60, v77, v247
	buffer_store_dword v88, off, s[24:27], 0 ; 4-byte Folded Spill
	v_mul_f32_e32 v138, 0xbf1a4643, v115
	v_mul_f32_e32 v143, 0xbe8c1d8e, v115
	;; [unrolled: 1-line block ×3, first 2 shown]
	v_add_f32_e32 v94, v99, v94
	v_add_f32_e32 v93, v100, v93
	v_mul_f32_e32 v88, 0xbf59a7d5, v115
	v_add_f32_e32 v99, v181, v213
	v_add_f32_e32 v100, v182, v227
	v_mul_f32_e32 v181, 0x3dbcf732, v115
	v_add_f32_e32 v182, v183, v241
	v_mul_f32_e32 v183, 0x3f3d2fb0, v115
	v_mul_f32_e32 v115, 0xbf7ba420, v115
	v_add_f32_e32 v173, v175, v173
	v_sub_f32_e32 v176, v192, v176
	v_add_f32_e32 v54, v60, v54
	v_add_f32_e32 v60, v108, v197
	;; [unrolled: 1-line block ×3, first 2 shown]
	v_mul_f32_e32 v186, 0x3dbcf732, v119
	v_add_f32_e32 v173, v176, v173
	v_sub_f32_e32 v98, v98, v177
	v_add_f32_e32 v54, v60, v54
	v_add_f32_e32 v60, v111, v190
	;; [unrolled: 1-line block ×3, first 2 shown]
	v_mul_f32_e32 v173, 0xbf59a7d5, v132
	v_add_f32_e32 v54, v60, v54
	v_add_f32_e32 v60, v112, v186
	;; [unrolled: 1-line block ×4, first 2 shown]
	v_sub_f32_e32 v52, v204, v52
	v_add_f32_e32 v99, v99, v5
	v_add_f32_e32 v60, v60, v54
	;; [unrolled: 1-line block ×3, first 2 shown]
	v_sub_f32_e32 v54, v218, v59
	v_add_f32_e32 v99, v100, v99
	v_add_f32_e32 v52, v54, v52
	v_sub_f32_e32 v54, v232, v65
	v_mul_f32_e32 v194, 0xbe8c1d8e, v107
	v_mul_f32_e32 v195, 0xbf59a7d5, v107
	;; [unrolled: 1-line block ×6, first 2 shown]
	v_add_f32_e32 v99, v182, v99
	v_add_f32_e32 v184, v184, v193
	;; [unrolled: 1-line block ×3, first 2 shown]
	v_sub_f32_e32 v54, v246, v76
	v_mul_f32_e32 v145, 0x3f6eb680, v114
	v_add_f32_e32 v99, v184, v99
	v_add_f32_e32 v107, v185, v107
	;; [unrolled: 1-line block ×3, first 2 shown]
	v_sub_f32_e32 v54, v196, v102
	v_add_f32_e32 v99, v107, v99
	v_mul_f32_e32 v107, 0x3dbcf732, v117
	v_add_f32_e32 v52, v54, v52
	v_sub_f32_e32 v54, v145, v103
	v_mul_f32_e32 v177, 0xbf59a7d5, v131
	v_add_f32_e32 v52, v54, v52
	v_sub_f32_e32 v54, v107, v104
	v_add_f32_e32 v52, v54, v52
	v_sub_f32_e32 v54, v177, v106
	v_add_f32_e32 v50, v50, v203
	v_add_f32_e32 v59, v54, v52
	;; [unrolled: 1-line block ×10, first 2 shown]
	v_mul_f32_e32 v185, 0x3ee437d1, v119
	v_add_f32_e32 v50, v52, v50
	v_add_f32_e32 v52, v83, v143
	v_mul_f32_e32 v176, 0x3f6eb680, v132
	v_add_f32_e32 v50, v52, v50
	v_add_f32_e32 v52, v91, v185
	;; [unrolled: 1-line block ×4, first 2 shown]
	v_sub_f32_e32 v49, v202, v49
	v_add_f32_e32 v50, v52, v50
	v_add_f32_e32 v49, v49, v4
	v_sub_f32_e32 v52, v216, v55
	v_add_f32_e32 v49, v52, v49
	v_sub_f32_e32 v52, v230, v61
	;; [unrolled: 2-line block ×3, first 2 shown]
	v_mul_f32_e32 v105, 0xbe8c1d8e, v114
	v_add_f32_e32 v49, v52, v49
	v_sub_f32_e32 v52, v255, v78
	v_mul_f32_e32 v184, 0x3ee437d1, v117
	v_add_f32_e32 v49, v52, v49
	v_sub_f32_e32 v52, v105, v82
	;; [unrolled: 3-line block ×3, first 2 shown]
	v_add_f32_e32 v49, v52, v49
	v_sub_f32_e32 v52, v192, v96
	v_add_f32_e32 v49, v52, v49
	v_add_f32_e32 v52, v53, v47
	buffer_load_dword v47, off, s[24:27], 0 ; 4-byte Folded Reload
	v_mul_f32_e32 v136, 0xbf1a4643, v114
	v_mul_f32_e32 v191, 0xbf59a7d5, v114
	;; [unrolled: 1-line block ×5, first 2 shown]
	v_add_f32_e32 v99, v115, v99
	v_mul_f32_e32 v115, 0x3f3d2fb0, v119
	v_mul_f32_e32 v182, 0xbf59a7d5, v117
	v_add_f32_e32 v115, v187, v115
	v_mul_f32_e32 v187, 0xbf1a4643, v117
	v_mul_f32_e32 v212, 0x3f6eb680, v117
	v_mul_f32_e32 v174, 0xbf7ba420, v117
	v_mul_f32_e32 v117, 0x3f3d2fb0, v117
	v_sub_f32_e32 v114, v114, v178
	v_add_f32_e32 v99, v115, v99
	v_mul_f32_e32 v115, 0xbe8c1d8e, v132
	v_add_f32_e32 v98, v114, v98
	v_sub_f32_e32 v117, v117, v179
	v_add_f32_e32 v115, v188, v115
	v_add_f32_e32 v98, v117, v98
	v_mul_f32_e32 v117, 0xbe8c1d8e, v131
	v_sub_f32_e32 v117, v117, v180
	v_add_f32_e32 v99, v115, v99
	v_add_f32_e32 v115, v162, v211
	;; [unrolled: 1-line block ×11, first 2 shown]
	v_mul_f32_e32 v193, 0xbf59a7d5, v119
	v_mul_f32_e32 v188, 0xbf1a4643, v119
	;; [unrolled: 1-line block ×4, first 2 shown]
	v_add_f32_e32 v101, v101, v115
	v_add_f32_e32 v115, v170, v183
	v_mul_f32_e32 v175, 0xbf7ba420, v132
	v_mul_f32_e32 v114, 0x3f3d2fb0, v132
	;; [unrolled: 1-line block ×4, first 2 shown]
	v_add_f32_e32 v101, v115, v101
	v_add_f32_e32 v115, v171, v119
	;; [unrolled: 1-line block ×5, first 2 shown]
	v_sub_f32_e32 v115, v210, v157
	v_add_f32_e32 v115, v115, v4
	v_sub_f32_e32 v117, v224, v158
	v_add_f32_e32 v115, v117, v115
	;; [unrolled: 2-line block ×5, first 2 shown]
	v_sub_f32_e32 v100, v100, v164
	v_mul_f32_e32 v226, 0xbf7ba420, v131
	v_mul_f32_e32 v178, 0x3f3d2fb0, v131
	;; [unrolled: 1-line block ×4, first 2 shown]
	v_add_f32_e32 v100, v100, v115
	v_sub_f32_e32 v115, v174, v166
	v_add_f32_e32 v100, v115, v100
	v_sub_f32_e32 v115, v131, v168
	v_add_f32_e32 v100, v115, v100
	v_add_f32_e32 v115, v146, v209
	;; [unrolled: 1-line block ×17, first 2 shown]
	v_sub_f32_e32 v115, v208, v139
	v_add_f32_e32 v115, v115, v4
	v_sub_f32_e32 v117, v222, v140
	v_add_f32_e32 v115, v117, v115
	;; [unrolled: 2-line block ×8, first 2 shown]
	v_add_f32_e32 v115, v124, v207
	v_add_f32_e32 v115, v115, v5
	;; [unrolled: 1-line block ×16, first 2 shown]
	v_sub_f32_e32 v88, v206, v116
	v_add_f32_e32 v48, v48, v201
	s_waitcnt vmcnt(0)
	v_sub_f32_e32 v47, v47, v51
	v_add_f32_e32 v88, v88, v4
	v_add_f32_e32 v48, v48, v5
	;; [unrolled: 1-line block ×19, first 2 shown]
	v_sub_f32_e32 v51, v214, v200
	v_add_f32_e32 v5, v11, v5
	v_add_f32_e32 v4, v10, v4
	v_sub_f32_e32 v114, v220, v118
	v_add_f32_e32 v48, v52, v48
	v_add_f32_e32 v52, v58, v229
	v_add_f32_e32 v47, v51, v47
	v_sub_f32_e32 v51, v228, v57
	v_add_f32_e32 v5, v13, v5
	;; [unrolled: 4-line block ×13, first 2 shown]
	v_add_f32_e32 v47, v51, v47
	v_add_f32_e32 v5, v37, v5
	;; [unrolled: 1-line block ×3, first 2 shown]
	v_add_lshl_u32 v6, v46, v215, 3
	v_add_f32_e32 v114, v114, v88
	ds_write2_b64 v6, v[4:5], v[47:48] offset1:1
	ds_write2_b64 v6, v[49:50], v[59:60] offset0:2 offset1:3
	ds_write2_b64 v6, v[114:115], v[109:110] offset0:4 offset1:5
	;; [unrolled: 1-line block ×7, first 2 shown]
	ds_write_b64 v6, v[2:3] offset:128
.LBB0_7:
	s_or_b64 exec, exec, s[2:3]
	v_add_lshl_u32 v90, v46, v86, 3
	v_add_u32_e32 v4, 0x800, v90
	s_waitcnt lgkmcnt(0)
	s_barrier
	ds_read2_b64 v[24:27], v90 offset1:51
	ds_read2_b64 v[20:23], v90 offset0:102 offset1:187
	ds_read2_b64 v[28:31], v4 offset0:118 offset1:169
	v_add_u32_e32 v4, 0x400, v90
	ds_read2_b64 v[32:35], v4 offset0:110 offset1:161
	ds_read_b64 v[36:37], v90 offset:3808
	v_cmp_gt_u16_e64 s[2:3], 34, v86
	s_and_saveexec_b64 s[4:5], s[2:3]
	s_cbranch_execz .LBB0_9
; %bb.8:
	ds_read2_b64 v[4:7], v4 offset0:25 offset1:212
	ds_read_b64 v[40:41], v90 offset:4216
	s_waitcnt lgkmcnt(1)
	v_mov_b32_e32 v38, v4
	v_mov_b32_e32 v39, v5
	;; [unrolled: 1-line block ×4, first 2 shown]
.LBB0_9:
	s_or_b64 exec, exec, s[4:5]
	s_movk_i32 s4, 0xf1
	v_add_u16_e32 v4, 0x66, v86
	v_mul_lo_u16_sdwa v13, v86, s4 dst_sel:DWORD dst_unused:UNUSED_PAD src0_sel:BYTE_0 src1_sel:DWORD
	v_mul_lo_u16_sdwa v5, v4, s4 dst_sel:DWORD dst_unused:UNUSED_PAD src0_sel:BYTE_0 src1_sel:DWORD
	v_lshrrev_b16_e32 v56, 12, v13
	v_lshrrev_b16_e32 v53, 12, v5
	v_mul_lo_u16_e32 v13, 17, v56
	v_mul_lo_u16_e32 v5, 17, v53
	v_sub_u16_e32 v57, v86, v13
	v_sub_u16_e32 v54, v4, v5
	v_add_u16_e32 v5, 0x99, v86
	v_lshlrev_b16_e32 v13, 1, v57
	v_mov_b32_e32 v12, 4
	v_mul_lo_u16_sdwa v6, v5, s4 dst_sel:DWORD dst_unused:UNUSED_PAD src0_sel:BYTE_0 src1_sel:DWORD
	v_and_b32_e32 v13, 0xfe, v13
	v_lshlrev_b32_sdwa v4, v12, v54 dst_sel:DWORD dst_unused:UNUSED_PAD src0_sel:DWORD src1_sel:BYTE_0
	v_lshrrev_b16_e32 v55, 12, v6
	v_lshlrev_b32_e32 v13, 3, v13
	v_add_u16_e32 v14, 51, v86
	global_load_dwordx4 v[8:11], v4, s[12:13]
	global_load_dwordx4 v[16:19], v13, s[12:13]
	v_mul_lo_u16_e32 v4, 17, v55
	v_mul_lo_u16_sdwa v15, v14, s4 dst_sel:DWORD dst_unused:UNUSED_PAD src0_sel:BYTE_0 src1_sel:DWORD
	v_sub_u16_e32 v91, v5, v4
	v_lshrrev_b16_e32 v58, 12, v15
	v_lshlrev_b32_sdwa v4, v12, v91 dst_sel:DWORD dst_unused:UNUSED_PAD src0_sel:DWORD src1_sel:BYTE_0
	v_mul_lo_u16_e32 v13, 17, v58
	global_load_dwordx4 v[4:7], v4, s[12:13]
	v_sub_u16_e32 v59, v14, v13
	v_lshlrev_b32_sdwa v12, v12, v59 dst_sel:DWORD dst_unused:UNUSED_PAD src0_sel:DWORD src1_sel:BYTE_0
	global_load_dwordx4 v[12:15], v12, s[12:13]
	v_mad_legacy_u16 v56, v56, 51, v57
	v_and_b32_e32 v56, 0xff, v56
	v_add_lshl_u32 v93, v46, v56, 3
	s_load_dwordx4 s[4:7], s[6:7], 0x0
	s_waitcnt vmcnt(0) lgkmcnt(0)
	s_barrier
	v_mul_u32_u24_e32 v92, 51, v55
	v_mul_f32_e32 v50, v37, v11
	v_mul_f32_e32 v60, v36, v11
	;; [unrolled: 1-line block ×4, first 2 shown]
	v_fma_f32 v63, v36, v10, -v50
	v_fmac_f32_e32 v60, v37, v10
	v_mul_f32_e32 v36, v23, v17
	v_mul_f32_e32 v37, v22, v17
	;; [unrolled: 1-line block ×6, first 2 shown]
	v_fmac_f32_e32 v48, v41, v6
	v_mul_f32_e32 v41, v28, v19
	v_fma_f32 v62, v34, v8, -v49
	v_fmac_f32_e32 v52, v35, v8
	v_fma_f32 v34, v44, v4, -v51
	v_fmac_f32_e32 v47, v45, v4
	v_fma_f32 v35, v40, v6, -v61
	v_mul_f32_e32 v40, v29, v19
	v_mul_f32_e32 v44, v33, v13
	;; [unrolled: 1-line block ×5, first 2 shown]
	v_fma_f32 v22, v22, v16, -v36
	v_fmac_f32_e32 v37, v23, v16
	v_fmac_f32_e32 v41, v29, v18
	v_fma_f32 v23, v28, v18, -v40
	v_fma_f32 v28, v32, v12, -v44
	v_fmac_f32_e32 v45, v33, v12
	v_fma_f32 v32, v30, v14, -v49
	v_fmac_f32_e32 v50, v31, v14
	v_add_f32_e32 v29, v24, v22
	v_add_f32_e32 v31, v25, v37
	;; [unrolled: 1-line block ×3, first 2 shown]
	v_sub_f32_e32 v40, v37, v41
	v_add_f32_e32 v36, v26, v28
	v_add_f32_e32 v37, v28, v32
	v_sub_f32_e32 v51, v28, v32
	v_add_f32_e32 v28, v29, v23
	v_add_f32_e32 v29, v31, v41
	v_fma_f32 v31, -0.5, v33, v25
	v_add_f32_e32 v30, v22, v23
	v_sub_f32_e32 v22, v22, v23
	v_add_f32_e32 v44, v27, v45
	v_fma_f32 v26, -0.5, v37, v26
	v_mov_b32_e32 v37, v31
	v_sub_f32_e32 v49, v45, v50
	v_add_f32_e32 v45, v45, v50
	v_add_f32_e32 v33, v44, v50
	v_fmac_f32_e32 v31, 0x3f5db3d7, v22
	v_mov_b32_e32 v44, v26
	v_fmac_f32_e32 v37, 0xbf5db3d7, v22
	v_add_f32_e32 v22, v20, v62
	v_fmac_f32_e32 v27, -0.5, v45
	v_fmac_f32_e32 v26, 0xbf5db3d7, v49
	v_fmac_f32_e32 v44, 0x3f5db3d7, v49
	v_add_f32_e32 v49, v22, v63
	v_add_f32_e32 v22, v62, v63
	v_mov_b32_e32 v45, v27
	v_fma_f32 v20, -0.5, v22, v20
	v_fma_f32 v30, -0.5, v30, v24
	v_fmac_f32_e32 v45, 0xbf5db3d7, v51
	v_fmac_f32_e32 v27, 0x3f5db3d7, v51
	v_sub_f32_e32 v22, v52, v60
	v_mov_b32_e32 v51, v20
	v_add_f32_e32 v32, v36, v32
	v_mov_b32_e32 v36, v30
	v_fmac_f32_e32 v51, 0x3f5db3d7, v22
	v_fmac_f32_e32 v20, 0xbf5db3d7, v22
	v_add_f32_e32 v22, v21, v52
	v_fmac_f32_e32 v36, 0x3f5db3d7, v40
	v_add_f32_e32 v50, v22, v60
	v_add_f32_e32 v22, v52, v60
	v_fmac_f32_e32 v30, 0xbf5db3d7, v40
	v_fmac_f32_e32 v21, -0.5, v22
	ds_write2_b64 v93, v[28:29], v[36:37] offset1:17
	ds_write_b64 v93, v[30:31] offset:272
	v_mul_u32_u24_e32 v28, 51, v58
	v_sub_f32_e32 v22, v62, v63
	v_mov_b32_e32 v52, v21
	v_add_u32_sdwa v28, v28, v59 dst_sel:DWORD dst_unused:UNUSED_PAD src0_sel:DWORD src1_sel:BYTE_0
	v_fmac_f32_e32 v52, 0xbf5db3d7, v22
	v_fmac_f32_e32 v21, 0x3f5db3d7, v22
	v_add_f32_e32 v22, v34, v35
	v_add_f32_e32 v24, v47, v48
	v_add_lshl_u32 v94, v46, v28, 3
	v_fma_f32 v22, -0.5, v22, v38
	v_fma_f32 v24, -0.5, v24, v39
	ds_write2_b64 v94, v[32:33], v[44:45] offset1:17
	ds_write_b64 v94, v[26:27] offset:272
	v_mul_u32_u24_e32 v26, 51, v53
	v_sub_f32_e32 v23, v47, v48
	v_mov_b32_e32 v40, v22
	v_sub_f32_e32 v25, v34, v35
	v_mov_b32_e32 v41, v24
	v_add_u32_sdwa v26, v26, v54 dst_sel:DWORD dst_unused:UNUSED_PAD src0_sel:DWORD src1_sel:BYTE_0
	v_fmac_f32_e32 v40, 0xbf5db3d7, v23
	v_fmac_f32_e32 v41, 0x3f5db3d7, v25
	v_add_lshl_u32 v95, v46, v26, 3
	ds_write2_b64 v95, v[49:50], v[51:52] offset1:17
	ds_write_b64 v95, v[20:21] offset:272
	s_and_saveexec_b64 s[14:15], s[2:3]
	s_cbranch_execz .LBB0_11
; %bb.10:
	v_mul_f32_e32 v20, 0x3f5db3d7, v23
	v_mul_f32_e32 v21, 0x3f5db3d7, v25
	v_sub_f32_e32 v21, v24, v21
	v_add_f32_e32 v23, v39, v47
	v_add_f32_e32 v20, v20, v22
	;; [unrolled: 1-line block ×3, first 2 shown]
	v_add_u32_sdwa v24, v92, v91 dst_sel:DWORD dst_unused:UNUSED_PAD src0_sel:DWORD src1_sel:BYTE_0
	v_add_f32_e32 v23, v23, v48
	v_add_f32_e32 v22, v22, v35
	v_add_lshl_u32 v24, v46, v24, 3
	ds_write2_b64 v24, v[22:23], v[20:21] offset1:17
	ds_write_b64 v24, v[40:41] offset:272
.LBB0_11:
	s_or_b64 exec, exec, s[14:15]
	v_mov_b32_e32 v21, s13
	s_movk_i32 s14, 0x50
	v_mov_b32_e32 v20, s12
	v_mad_u64_u32 v[44:45], s[12:13], v86, s14, v[20:21]
	s_waitcnt lgkmcnt(0)
	s_barrier
	global_load_dwordx4 v[32:35], v[44:45], off offset:272
	global_load_dwordx4 v[28:31], v[44:45], off offset:288
	;; [unrolled: 1-line block ×5, first 2 shown]
	ds_read2_b64 v[44:47], v90 offset1:51
	ds_read_b64 v[64:65], v90 offset:816
	ds_read2_b64 v[48:51], v90 offset0:153 offset1:204
	v_add_u32_e32 v52, 0x400, v90
	v_add_u32_e32 v60, 0x800, v90
	ds_read2_b64 v[52:55], v52 offset0:127 offset1:178
	ds_read2_b64 v[56:59], v60 offset0:101 offset1:152
	;; [unrolled: 1-line block ×3, first 2 shown]
	s_mov_b32 s12, 0x3f575c64
	s_mov_b32 s13, 0x3ed4b147
	;; [unrolled: 1-line block ×5, first 2 shown]
	s_waitcnt vmcnt(4) lgkmcnt(5)
	v_mul_f32_e32 v66, v47, v33
	v_mul_f32_e32 v67, v46, v33
	s_waitcnt lgkmcnt(4)
	v_mul_f32_e32 v73, v65, v35
	s_waitcnt vmcnt(3) lgkmcnt(3)
	v_mul_f32_e32 v76, v48, v29
	v_mul_f32_e32 v77, v51, v31
	s_waitcnt vmcnt(2) lgkmcnt(2)
	v_mul_f32_e32 v79, v53, v25
	s_waitcnt vmcnt(1) lgkmcnt(1)
	v_mul_f32_e32 v83, v57, v21
	v_fma_f32 v46, v46, v32, -v66
	v_mul_f32_e32 v75, v64, v35
	v_mul_f32_e32 v74, v49, v29
	;; [unrolled: 1-line block ×5, first 2 shown]
	v_fmac_f32_e32 v67, v47, v32
	v_fma_f32 v47, v64, v34, -v73
	v_fmac_f32_e32 v76, v49, v28
	v_fma_f32 v49, v50, v30, -v77
	v_fma_f32 v50, v52, v24, -v79
	;; [unrolled: 1-line block ×3, first 2 shown]
	v_add_f32_e32 v56, v44, v46
	v_fmac_f32_e32 v75, v65, v34
	v_fma_f32 v48, v48, v28, -v74
	v_fmac_f32_e32 v84, v57, v20
	v_add_f32_e32 v57, v45, v67
	v_add_f32_e32 v56, v56, v47
	;; [unrolled: 1-line block ×4, first 2 shown]
	v_mul_f32_e32 v81, v55, v27
	v_fmac_f32_e32 v78, v51, v30
	v_add_f32_e32 v57, v57, v76
	v_add_f32_e32 v56, v56, v49
	v_mul_f32_e32 v82, v54, v27
	v_fmac_f32_e32 v80, v53, v24
	v_fma_f32 v51, v54, v26, -v81
	v_add_f32_e32 v57, v57, v78
	v_add_f32_e32 v56, v56, v50
	v_mul_f32_e32 v88, v59, v23
	v_fmac_f32_e32 v82, v55, v26
	v_add_f32_e32 v57, v57, v80
	v_add_f32_e32 v56, v56, v51
	v_mul_f32_e32 v89, v58, v23
	s_waitcnt vmcnt(0) lgkmcnt(0)
	v_mul_f32_e32 v96, v61, v37
	v_mul_f32_e32 v98, v63, v39
	v_fma_f32 v53, v58, v22, -v88
	v_add_f32_e32 v57, v57, v82
	v_add_f32_e32 v56, v56, v52
	v_mul_f32_e32 v97, v60, v37
	v_fmac_f32_e32 v89, v59, v22
	v_fma_f32 v54, v60, v36, -v96
	v_fma_f32 v55, v62, v38, -v98
	v_add_f32_e32 v57, v57, v84
	v_add_f32_e32 v56, v56, v53
	v_mul_f32_e32 v99, v62, v39
	v_fmac_f32_e32 v97, v61, v36
	v_add_f32_e32 v58, v46, v55
	v_sub_f32_e32 v46, v46, v55
	v_add_f32_e32 v57, v57, v89
	v_add_f32_e32 v56, v56, v54
	v_fmac_f32_e32 v99, v63, v38
	v_mul_f32_e32 v62, 0xbf0a6770, v46
	v_add_f32_e32 v57, v57, v97
	v_add_f32_e32 v73, v56, v55
	v_mul_f32_e32 v56, 0xbf68dda4, v46
	v_mul_f32_e32 v77, 0xbf7d64f0, v46
	v_mul_f32_e32 v88, 0xbf4178ce, v46
	v_mul_f32_e32 v46, 0xbe903f40, v46
	v_add_f32_e32 v59, v67, v99
	v_sub_f32_e32 v60, v67, v99
	v_mov_b32_e32 v65, v62
	v_add_f32_e32 v74, v57, v99
	v_mov_b32_e32 v57, v56
	v_mov_b32_e32 v79, v77
	;; [unrolled: 1-line block ×4, first 2 shown]
	v_fma_f32 v62, v59, s12, -v62
	v_fmac_f32_e32 v65, 0x3f575c64, v59
	v_fmac_f32_e32 v57, 0x3ed4b147, v59
	v_fma_f32 v56, v59, s13, -v56
	v_fmac_f32_e32 v79, 0xbe11bafb, v59
	v_fma_f32 v77, v59, s14, -v77
	;; [unrolled: 2-line block ×4, first 2 shown]
	v_mul_f32_e32 v61, 0xbf0a6770, v60
	v_mul_f32_e32 v63, 0xbf68dda4, v60
	v_add_f32_e32 v62, v45, v62
	v_add_f32_e32 v65, v45, v65
	;; [unrolled: 1-line block ×4, first 2 shown]
	v_mul_f32_e32 v66, 0xbf7d64f0, v60
	v_add_f32_e32 v79, v45, v79
	v_add_f32_e32 v77, v45, v77
	v_mul_f32_e32 v81, 0xbf4178ce, v60
	v_add_f32_e32 v96, v45, v96
	v_add_f32_e32 v88, v45, v88
	;; [unrolled: 3-line block ×3, first 2 shown]
	v_add_f32_e32 v46, v47, v54
	v_sub_f32_e32 v47, v47, v54
	v_sub_f32_e32 v54, v75, v97
	v_fma_f32 v64, v58, s12, -v61
	v_fmac_f32_e32 v61, 0x3f575c64, v58
	v_fma_f32 v55, v58, s13, -v63
	v_fmac_f32_e32 v63, 0x3ed4b147, v58
	;; [unrolled: 2-line block ×5, first 2 shown]
	v_mul_f32_e32 v59, 0xbf68dda4, v54
	v_add_f32_e32 v64, v44, v64
	v_add_f32_e32 v61, v44, v61
	v_add_f32_e32 v55, v44, v55
	v_add_f32_e32 v63, v44, v63
	v_add_f32_e32 v67, v44, v67
	v_add_f32_e32 v66, v44, v66
	v_add_f32_e32 v83, v44, v83
	v_add_f32_e32 v81, v44, v81
	v_add_f32_e32 v98, v44, v98
	v_add_f32_e32 v44, v44, v60
	v_fma_f32 v60, v46, s13, -v59
	v_add_f32_e32 v58, v75, v97
	v_add_f32_e32 v60, v60, v64
	v_mul_f32_e32 v64, 0xbf68dda4, v47
	v_fmac_f32_e32 v59, 0x3ed4b147, v46
	v_add_f32_e32 v59, v59, v61
	v_fma_f32 v61, v58, s13, -v64
	v_add_f32_e32 v61, v61, v62
	v_mul_f32_e32 v62, 0xbf4178ce, v54
	v_mov_b32_e32 v75, v64
	v_fma_f32 v64, v46, s15, -v62
	v_add_f32_e32 v55, v64, v55
	v_mul_f32_e32 v64, 0xbf4178ce, v47
	v_fmac_f32_e32 v62, 0xbf27a4f4, v46
	v_add_f32_e32 v62, v62, v63
	v_fma_f32 v63, v58, s15, -v64
	v_fmac_f32_e32 v75, 0x3ed4b147, v58
	v_add_f32_e32 v56, v63, v56
	v_mul_f32_e32 v63, 0x3e903f40, v54
	v_add_f32_e32 v65, v75, v65
	v_mov_b32_e32 v75, v64
	v_fma_f32 v64, v46, s16, -v63
	v_fmac_f32_e32 v75, 0xbf27a4f4, v58
	v_add_f32_e32 v64, v64, v67
	v_mul_f32_e32 v67, 0x3e903f40, v47
	v_add_f32_e32 v57, v75, v57
	v_mov_b32_e32 v75, v67
	v_fmac_f32_e32 v63, 0xbf75a155, v46
	v_fmac_f32_e32 v75, 0xbf75a155, v58
	v_add_f32_e32 v63, v63, v66
	v_fma_f32 v66, v58, s16, -v67
	v_mul_f32_e32 v67, 0x3f7d64f0, v54
	v_add_f32_e32 v75, v75, v79
	v_add_f32_e32 v66, v66, v77
	v_fma_f32 v77, v46, s14, -v67
	v_mul_f32_e32 v79, 0x3f7d64f0, v47
	v_fmac_f32_e32 v67, 0xbe11bafb, v46
	v_mul_f32_e32 v54, 0x3f0a6770, v54
	v_mul_f32_e32 v47, 0x3f0a6770, v47
	v_add_f32_e32 v67, v67, v81
	v_fma_f32 v81, v46, s12, -v54
	v_fmac_f32_e32 v54, 0x3f575c64, v46
	v_fma_f32 v46, v58, s12, -v47
	v_add_f32_e32 v77, v77, v83
	v_mov_b32_e32 v83, v79
	v_fma_f32 v79, v58, s14, -v79
	v_add_f32_e32 v45, v46, v45
	v_add_f32_e32 v46, v48, v53
	v_sub_f32_e32 v48, v48, v53
	v_sub_f32_e32 v53, v76, v89
	v_add_f32_e32 v79, v79, v88
	v_mov_b32_e32 v88, v47
	v_add_f32_e32 v44, v54, v44
	v_mul_f32_e32 v54, 0xbf7d64f0, v53
	v_fmac_f32_e32 v83, 0xbe11bafb, v58
	v_fmac_f32_e32 v88, 0x3f575c64, v58
	v_fma_f32 v58, v46, s14, -v54
	v_add_f32_e32 v47, v76, v89
	v_add_f32_e32 v58, v58, v60
	v_mul_f32_e32 v60, 0xbf7d64f0, v48
	v_fmac_f32_e32 v54, 0xbe11bafb, v46
	v_mov_b32_e32 v76, v60
	v_add_f32_e32 v54, v54, v59
	v_fma_f32 v59, v47, s14, -v60
	v_mul_f32_e32 v60, 0x3e903f40, v53
	v_add_f32_e32 v59, v59, v61
	v_fma_f32 v61, v46, s16, -v60
	v_fmac_f32_e32 v76, 0xbe11bafb, v47
	v_add_f32_e32 v55, v61, v55
	v_mul_f32_e32 v61, 0x3e903f40, v48
	v_add_f32_e32 v65, v76, v65
	v_mov_b32_e32 v76, v61
	v_fma_f32 v61, v47, s16, -v61
	v_fmac_f32_e32 v60, 0xbf75a155, v46
	v_add_f32_e32 v56, v61, v56
	v_mul_f32_e32 v61, 0x3f68dda4, v53
	v_add_f32_e32 v60, v60, v62
	v_fma_f32 v62, v46, s13, -v61
	v_fmac_f32_e32 v76, 0xbf75a155, v47
	v_add_f32_e32 v62, v62, v64
	v_mul_f32_e32 v64, 0x3f68dda4, v48
	v_add_f32_e32 v57, v76, v57
	v_mov_b32_e32 v76, v64
	v_fmac_f32_e32 v61, 0x3ed4b147, v46
	v_fmac_f32_e32 v76, 0x3ed4b147, v47
	v_add_f32_e32 v61, v61, v63
	v_fma_f32 v63, v47, s13, -v64
	v_mul_f32_e32 v64, 0xbf0a6770, v53
	v_add_f32_e32 v75, v76, v75
	v_add_f32_e32 v63, v63, v66
	v_fma_f32 v66, v46, s12, -v64
	v_mul_f32_e32 v76, 0xbf0a6770, v48
	v_fmac_f32_e32 v64, 0x3f575c64, v46
	v_mul_f32_e32 v53, 0xbf4178ce, v53
	v_mul_f32_e32 v48, 0xbf4178ce, v48
	v_add_f32_e32 v66, v66, v77
	v_mov_b32_e32 v77, v76
	v_add_f32_e32 v64, v64, v67
	v_fma_f32 v67, v47, s12, -v76
	v_fma_f32 v76, v46, s15, -v53
	v_fmac_f32_e32 v53, 0xbf27a4f4, v46
	v_fma_f32 v46, v47, s15, -v48
	v_add_f32_e32 v67, v67, v79
	v_mov_b32_e32 v79, v48
	v_add_f32_e32 v45, v46, v45
	v_add_f32_e32 v46, v49, v52
	v_sub_f32_e32 v48, v49, v52
	v_sub_f32_e32 v49, v78, v84
	v_mul_f32_e32 v52, 0xbf4178ce, v49
	v_add_f32_e32 v44, v53, v44
	v_fma_f32 v53, v46, s15, -v52
	v_fmac_f32_e32 v77, 0x3f575c64, v47
	v_fmac_f32_e32 v79, 0xbf27a4f4, v47
	v_add_f32_e32 v47, v78, v84
	v_add_f32_e32 v53, v53, v58
	v_mul_f32_e32 v58, 0xbf4178ce, v48
	v_fmac_f32_e32 v52, 0xbf27a4f4, v46
	v_add_f32_e32 v52, v52, v54
	v_fma_f32 v54, v47, s15, -v58
	v_mov_b32_e32 v78, v58
	v_add_f32_e32 v58, v54, v59
	v_mul_f32_e32 v54, 0x3f7d64f0, v49
	v_fma_f32 v59, v46, s14, -v54
	v_add_f32_e32 v59, v59, v55
	v_mul_f32_e32 v55, 0x3f7d64f0, v48
	v_fmac_f32_e32 v54, 0xbe11bafb, v46
	v_add_f32_e32 v60, v54, v60
	v_fma_f32 v54, v47, s14, -v55
	v_fmac_f32_e32 v78, 0xbf27a4f4, v47
	v_add_f32_e32 v56, v54, v56
	v_mul_f32_e32 v54, 0xbf0a6770, v49
	v_add_f32_e32 v65, v78, v65
	v_mov_b32_e32 v78, v55
	v_fma_f32 v55, v46, s12, -v54
	v_add_f32_e32 v62, v55, v62
	v_mul_f32_e32 v55, 0xbf0a6770, v48
	v_fmac_f32_e32 v54, 0x3f575c64, v46
	v_add_f32_e32 v61, v54, v61
	v_fma_f32 v54, v47, s12, -v55
	v_fmac_f32_e32 v78, 0xbe11bafb, v47
	v_add_f32_e32 v63, v54, v63
	v_mul_f32_e32 v54, 0xbe903f40, v49
	v_add_f32_e32 v57, v78, v57
	v_mov_b32_e32 v78, v55
	v_fma_f32 v55, v46, s16, -v54
	v_add_f32_e32 v66, v55, v66
	v_mul_f32_e32 v55, 0xbe903f40, v48
	v_fmac_f32_e32 v54, 0xbf75a155, v46
	v_add_f32_e32 v81, v81, v98
	v_add_f32_e32 v64, v54, v64
	v_fma_f32 v54, v47, s16, -v55
	v_mul_f32_e32 v49, 0x3f68dda4, v49
	v_add_f32_e32 v76, v76, v81
	v_fmac_f32_e32 v78, 0x3f575c64, v47
	v_add_f32_e32 v67, v54, v67
	v_fma_f32 v54, v46, s13, -v49
	v_mul_f32_e32 v48, 0x3f68dda4, v48
	v_add_f32_e32 v83, v83, v96
	v_add_f32_e32 v88, v88, v99
	;; [unrolled: 1-line block ×3, first 2 shown]
	v_mov_b32_e32 v78, v55
	v_add_f32_e32 v76, v54, v76
	v_mov_b32_e32 v54, v48
	v_add_f32_e32 v77, v77, v83
	v_add_f32_e32 v79, v79, v88
	v_fmac_f32_e32 v78, 0xbf75a155, v47
	v_fmac_f32_e32 v54, 0x3ed4b147, v47
	;; [unrolled: 1-line block ×3, first 2 shown]
	v_add_f32_e32 v84, v80, v82
	v_sub_f32_e32 v80, v80, v82
	v_add_f32_e32 v77, v78, v77
	v_add_f32_e32 v78, v54, v79
	;; [unrolled: 1-line block ×3, first 2 shown]
	v_fma_f32 v44, v47, s13, -v48
	v_add_f32_e32 v83, v50, v51
	v_sub_f32_e32 v88, v50, v51
	v_mul_f32_e32 v46, 0xbe903f40, v80
	v_add_f32_e32 v81, v44, v45
	v_fma_f32 v44, v83, s16, -v46
	v_mul_f32_e32 v47, 0xbe903f40, v88
	v_fmac_f32_e32 v46, 0xbf75a155, v83
	v_add_f32_e32 v54, v46, v52
	v_fma_f32 v46, v84, s16, -v47
	v_mul_f32_e32 v48, 0x3f0a6770, v80
	v_add_f32_e32 v55, v46, v58
	v_fma_f32 v46, v83, s12, -v48
	v_mul_f32_e32 v49, 0x3f0a6770, v88
	v_fmac_f32_e32 v48, 0x3f575c64, v83
	v_add_f32_e32 v52, v48, v60
	v_fma_f32 v48, v84, s12, -v49
	v_mul_f32_e32 v50, 0xbf4178ce, v80
	v_add_f32_e32 v44, v44, v53
	v_mov_b32_e32 v45, v47
	v_mov_b32_e32 v47, v49
	v_add_f32_e32 v53, v48, v56
	v_fma_f32 v48, v83, s15, -v50
	v_mul_f32_e32 v51, 0xbf4178ce, v88
	v_fmac_f32_e32 v50, 0xbf27a4f4, v83
	v_fmac_f32_e32 v47, 0x3f575c64, v84
	v_add_f32_e32 v58, v50, v61
	v_fma_f32 v50, v84, s15, -v51
	v_add_f32_e32 v46, v46, v59
	v_add_f32_e32 v47, v47, v57
	;; [unrolled: 1-line block ×3, first 2 shown]
	v_mul_f32_e32 v57, 0x3f68dda4, v88
	v_mul_f32_e32 v63, 0xbf7d64f0, v88
	v_add_f32_e32 v48, v48, v62
	v_mov_b32_e32 v49, v51
	v_mul_f32_e32 v56, 0x3f68dda4, v80
	v_mov_b32_e32 v51, v57
	v_mul_f32_e32 v62, 0xbf7d64f0, v80
	v_mov_b32_e32 v61, v63
	v_fmac_f32_e32 v45, 0xbf75a155, v84
	v_fmac_f32_e32 v49, 0xbf27a4f4, v84
	v_fma_f32 v50, v83, s13, -v56
	v_fmac_f32_e32 v51, 0x3ed4b147, v84
	v_fmac_f32_e32 v56, 0x3ed4b147, v83
	v_fma_f32 v57, v84, s13, -v57
	v_fma_f32 v60, v83, s14, -v62
	v_fmac_f32_e32 v61, 0xbe11bafb, v84
	v_fmac_f32_e32 v62, 0xbe11bafb, v83
	v_fma_f32 v63, v84, s14, -v63
	v_lshl_add_u32 v89, v86, 3, v87
	v_add_f32_e32 v45, v45, v65
	v_add_f32_e32 v49, v49, v75
	;; [unrolled: 1-line block ×10, first 2 shown]
	v_add_u32_e32 v65, 0x400, v89
	v_add_u32_e32 v64, 0x800, v89
	ds_write_b64 v89, v[73:74]
	ds_write2_b64 v89, v[44:45], v[46:47] offset0:51 offset1:102
	ds_write2_b64 v89, v[48:49], v[50:51] offset0:153 offset1:204
	;; [unrolled: 1-line block ×5, first 2 shown]
	s_waitcnt lgkmcnt(0)
	s_barrier
	s_and_saveexec_b64 s[12:13], s[0:1]
	s_cbranch_execz .LBB0_13
; %bb.12:
	v_mov_b32_e32 v66, s9
	v_add_co_u32_e32 v79, vcc, s8, v85
	v_addc_co_u32_e32 v80, vcc, 0, v66, vcc
	v_add_co_u32_e32 v66, vcc, 0x1188, v79
	v_addc_co_u32_e32 v67, vcc, 0, v80, vcc
	;; [unrolled: 2-line block ×3, first 2 shown]
	global_load_dwordx2 v[77:78], v[75:76], off offset:392
	global_load_dwordx2 v[83:84], v[66:67], off offset:264
	;; [unrolled: 1-line block ×15, first 2 shown]
	v_add_co_u32_e32 v79, vcc, 0x2000, v79
	global_load_dwordx2 v[66:67], v[66:67], off offset:3960
	v_addc_co_u32_e32 v80, vcc, 0, v80, vcc
	global_load_dwordx2 v[138:139], v[79:80], off offset:520
	ds_read_b64 v[75:76], v89
	s_waitcnt vmcnt(16) lgkmcnt(0)
	v_mul_f32_e32 v80, v76, v78
	v_mul_f32_e32 v79, v75, v78
	v_fma_f32 v78, v75, v77, -v80
	v_fmac_f32_e32 v79, v76, v77
	ds_write_b64 v89, v[78:79]
	ds_read2_b64 v[75:78], v89 offset0:33 offset1:66
	ds_read2_b64 v[79:82], v89 offset0:99 offset1:132
	ds_read2_b64 v[96:99], v89 offset0:165 offset1:198
	ds_read2_b64 v[100:103], v65 offset0:103 offset1:136
	ds_read2_b64 v[104:107], v64 offset0:41 offset1:74
	ds_read2_b64 v[108:111], v64 offset0:107 offset1:140
	s_waitcnt vmcnt(15) lgkmcnt(5)
	v_mul_f32_e32 v88, v76, v84
	v_mul_f32_e32 v141, v75, v84
	s_waitcnt vmcnt(14)
	v_mul_f32_e32 v142, v78, v113
	v_mul_f32_e32 v84, v77, v113
	s_waitcnt vmcnt(13) lgkmcnt(4)
	v_mul_f32_e32 v143, v80, v115
	v_mul_f32_e32 v113, v79, v115
	s_waitcnt vmcnt(12)
	v_mul_f32_e32 v144, v82, v117
	v_mul_f32_e32 v115, v81, v117
	;; [unrolled: 6-line block ×5, first 2 shown]
	v_fma_f32 v140, v75, v83, -v88
	v_fmac_f32_e32 v141, v76, v83
	v_fma_f32 v83, v77, v112, -v142
	v_fmac_f32_e32 v84, v78, v112
	;; [unrolled: 2-line block ×10, first 2 shown]
	ds_write2_b64 v89, v[140:141], v[83:84] offset0:33 offset1:66
	ds_write2_b64 v89, v[112:113], v[114:115] offset0:99 offset1:132
	;; [unrolled: 1-line block ×5, first 2 shown]
	ds_read2_b64 v[75:78], v64 offset0:173 offset1:206
	s_waitcnt vmcnt(5) lgkmcnt(6)
	v_mul_f32_e32 v129, v109, v131
	v_mul_f32_e32 v80, v108, v131
	s_waitcnt vmcnt(4)
	v_mul_f32_e32 v65, v111, v133
	v_mul_f32_e32 v82, v110, v133
	v_fma_f32 v79, v108, v130, -v129
	v_fmac_f32_e32 v80, v109, v130
	v_fma_f32 v81, v110, v132, -v65
	v_fmac_f32_e32 v82, v111, v132
	v_add_u32_e32 v88, 0xc00, v89
	ds_write2_b64 v64, v[79:80], v[81:82] offset0:107 offset1:140
	ds_read2_b64 v[79:82], v88 offset0:111 offset1:144
	s_waitcnt vmcnt(3) lgkmcnt(2)
	v_mul_f32_e32 v65, v76, v135
	v_mul_f32_e32 v84, v75, v135
	v_fma_f32 v83, v75, v134, -v65
	v_fmac_f32_e32 v84, v76, v134
	s_waitcnt vmcnt(2)
	v_mul_f32_e32 v65, v78, v137
	v_mul_f32_e32 v76, v77, v137
	v_fma_f32 v75, v77, v136, -v65
	v_fmac_f32_e32 v76, v78, v136
	ds_write2_b64 v64, v[83:84], v[75:76] offset0:173 offset1:206
	s_waitcnt vmcnt(1) lgkmcnt(1)
	v_mul_f32_e32 v64, v80, v67
	v_mul_f32_e32 v65, v79, v67
	v_fma_f32 v64, v79, v66, -v64
	v_fmac_f32_e32 v65, v80, v66
	s_waitcnt vmcnt(0)
	v_mul_f32_e32 v66, v82, v139
	v_mul_f32_e32 v67, v81, v139
	v_fma_f32 v66, v81, v138, -v66
	v_fmac_f32_e32 v67, v82, v138
	ds_write2_b64 v88, v[64:65], v[66:67] offset0:111 offset1:144
.LBB0_13:
	s_or_b64 exec, exec, s[12:13]
	s_waitcnt lgkmcnt(0)
	s_barrier
	s_and_saveexec_b64 s[12:13], s[0:1]
	s_cbranch_execz .LBB0_15
; %bb.14:
	v_add_u32_e32 v0, 0x400, v89
	ds_read_b64 v[73:74], v89
	ds_read2_b64 v[44:47], v89 offset0:33 offset1:66
	ds_read2_b64 v[48:51], v89 offset0:99 offset1:132
	;; [unrolled: 1-line block ×4, first 2 shown]
	v_add_u32_e32 v0, 0x800, v89
	ds_read2_b64 v[40:43], v0 offset0:107 offset1:140
	ds_read2_b64 v[52:55], v0 offset0:41 offset1:74
	;; [unrolled: 1-line block ×3, first 2 shown]
	v_add_u32_e32 v0, 0xc00, v89
	ds_read2_b64 v[0:3], v0 offset0:111 offset1:144
	s_waitcnt lgkmcnt(3)
	v_mov_b32_e32 v71, v42
	v_mov_b32_e32 v72, v43
	s_waitcnt lgkmcnt(1)
	v_mov_b32_e32 v69, v64
	v_mov_b32_e32 v70, v65
	;; [unrolled: 1-line block ×4, first 2 shown]
.LBB0_15:
	s_or_b64 exec, exec, s[12:13]
	s_waitcnt lgkmcnt(0)
	v_sub_f32_e32 v112, v45, v3
	v_add_f32_e32 v96, v2, v44
	v_add_f32_e32 v114, v3, v45
	s_mov_b32 s14, 0xbf1a4643
	v_mul_f32_e32 v81, 0xbf4c4adb, v112
	v_sub_f32_e32 v113, v47, v1
	v_mul_f32_e32 v82, 0xbf1a4643, v114
	v_fma_f32 v64, v96, s14, -v81
	v_add_f32_e32 v98, v0, v46
	v_add_f32_e32 v116, v1, v47
	s_mov_b32 s17, 0xbe8c1d8e
	v_mul_f32_e32 v83, 0x3f763a35, v113
	v_sub_f32_e32 v97, v44, v2
	v_add_f32_e32 v64, v73, v64
	v_mov_b32_e32 v65, v82
	v_mul_f32_e32 v84, 0xbe8c1d8e, v116
	v_fma_f32 v88, v98, s17, -v83
	v_fmac_f32_e32 v65, 0xbf4c4adb, v97
	s_mov_b32 s15, 0xbf59a7d5
	v_mul_f32_e32 v79, 0xbf06c442, v112
	v_sub_f32_e32 v99, v46, v0
	v_add_f32_e32 v64, v88, v64
	v_mov_b32_e32 v88, v84
	v_add_f32_e32 v65, v74, v65
	v_mul_f32_e32 v80, 0xbf59a7d5, v114
	v_fma_f32 v66, v96, s15, -v79
	v_fmac_f32_e32 v88, 0x3f763a35, v99
	s_mov_b32 s18, 0x3ee437d1
	v_mul_f32_e32 v129, 0x3f65296c, v113
	v_add_f32_e32 v66, v73, v66
	v_mov_b32_e32 v67, v80
	v_add_f32_e32 v65, v88, v65
	v_mul_f32_e32 v132, 0x3ee437d1, v116
	v_fma_f32 v88, v98, s18, -v129
	v_fmac_f32_e32 v67, 0xbf06c442, v97
	s_mov_b32 s16, 0xbf7ba420
	v_mul_f32_e32 v77, 0xbe3c28d5, v112
	;; [unrolled: 8-line block ×3, first 2 shown]
	v_add_f32_e32 v75, v73, v75
	v_mov_b32_e32 v76, v78
	v_add_f32_e32 v67, v88, v67
	v_mul_f32_e32 v141, 0x3f6eb680, v116
	v_fma_f32 v88, v98, s19, -v136
	v_fmac_f32_e32 v76, 0xbe3c28d5, v97
	v_add_f32_e32 v75, v88, v75
	v_mov_b32_e32 v88, v141
	v_sub_f32_e32 v115, v49, v43
	v_add_f32_e32 v76, v74, v76
	v_fmac_f32_e32 v88, 0x3eb8f4ab, v99
	v_add_f32_e32 v100, v42, v48
	v_add_f32_e32 v118, v43, v49
	v_mul_f32_e32 v128, 0xbeb8f4ab, v115
	v_add_f32_e32 v76, v88, v76
	v_mul_f32_e32 v130, 0x3f6eb680, v118
	v_fma_f32 v88, v100, s19, -v128
	v_sub_f32_e32 v101, v48, v42
	v_add_f32_e32 v64, v88, v64
	v_mov_b32_e32 v88, v130
	v_fmac_f32_e32 v88, 0xbeb8f4ab, v101
	s_mov_b32 s20, 0x3dbcf732
	v_mul_f32_e32 v133, 0xbf7ee86f, v115
	v_add_f32_e32 v65, v88, v65
	v_mul_f32_e32 v137, 0x3dbcf732, v118
	v_fma_f32 v88, v100, s20, -v133
	v_add_f32_e32 v66, v88, v66
	v_mov_b32_e32 v88, v137
	v_fmac_f32_e32 v88, 0xbf7ee86f, v101
	v_mul_f32_e32 v142, 0xbf06c442, v115
	v_add_f32_e32 v67, v88, v67
	v_mul_f32_e32 v147, 0xbf59a7d5, v118
	v_fma_f32 v88, v100, s15, -v142
	v_add_f32_e32 v75, v88, v75
	v_mov_b32_e32 v88, v147
	v_sub_f32_e32 v117, v51, v70
	v_fmac_f32_e32 v88, 0xbf06c442, v101
	v_add_f32_e32 v102, v69, v50
	v_add_f32_e32 v120, v70, v51
	v_mul_f32_e32 v131, 0xbf06c442, v117
	v_add_f32_e32 v76, v88, v76
	v_mul_f32_e32 v134, 0xbf59a7d5, v120
	v_fma_f32 v88, v102, s15, -v131
	v_sub_f32_e32 v103, v50, v69
	v_add_f32_e32 v64, v88, v64
	v_mov_b32_e32 v88, v134
	v_fmac_f32_e32 v88, 0xbf06c442, v103
	v_mul_f32_e32 v138, 0x3f4c4adb, v117
	v_add_f32_e32 v65, v88, v65
	v_mul_f32_e32 v143, 0xbf1a4643, v120
	v_fma_f32 v88, v102, s14, -v138
	v_add_f32_e32 v66, v88, v66
	v_mov_b32_e32 v88, v143
	v_fmac_f32_e32 v88, 0x3f4c4adb, v103
	s_mov_b32 s21, 0x3f3d2fb0
	v_mul_f32_e32 v148, 0x3f2c7751, v117
	v_add_f32_e32 v67, v88, v67
	v_mul_f32_e32 v153, 0x3f3d2fb0, v120
	v_fma_f32 v88, v102, s21, -v148
	v_add_f32_e32 v75, v88, v75
	v_mov_b32_e32 v88, v153
	v_sub_f32_e32 v119, v61, v72
	v_fmac_f32_e32 v88, 0x3f2c7751, v103
	v_add_f32_e32 v104, v71, v60
	v_add_f32_e32 v122, v72, v61
	v_mul_f32_e32 v135, 0x3f7ee86f, v119
	v_add_f32_e32 v76, v88, v76
	v_mul_f32_e32 v139, 0x3dbcf732, v122
	v_fma_f32 v88, v104, s20, -v135
	v_sub_f32_e32 v105, v60, v71
	v_add_f32_e32 v64, v88, v64
	v_mov_b32_e32 v88, v139
	v_fmac_f32_e32 v88, 0x3f7ee86f, v105
	v_mul_f32_e32 v144, 0xbeb8f4ab, v119
	v_add_f32_e32 v65, v88, v65
	v_mul_f32_e32 v149, 0x3f6eb680, v122
	v_fma_f32 v88, v104, s19, -v144
	v_add_f32_e32 v66, v88, v66
	v_mov_b32_e32 v88, v149
	v_fmac_f32_e32 v88, 0xbeb8f4ab, v105
	v_mul_f32_e32 v154, 0xbf4c4adb, v119
	v_add_f32_e32 v67, v88, v67
	v_mul_f32_e32 v158, 0xbf1a4643, v122
	v_fma_f32 v88, v104, s14, -v154
	v_add_f32_e32 v75, v88, v75
	v_mov_b32_e32 v88, v158
	v_sub_f32_e32 v121, v63, v41
	v_fmac_f32_e32 v88, 0xbf4c4adb, v105
	v_add_f32_e32 v106, v40, v62
	v_add_f32_e32 v124, v41, v63
	v_mul_f32_e32 v140, 0xbf2c7751, v121
	v_add_f32_e32 v76, v88, v76
	v_mul_f32_e32 v145, 0x3f3d2fb0, v124
	v_fma_f32 v88, v106, s21, -v140
	v_sub_f32_e32 v107, v62, v40
	v_add_f32_e32 v64, v88, v64
	v_mov_b32_e32 v88, v145
	v_fmac_f32_e32 v88, 0xbf2c7751, v107
	v_mul_f32_e32 v150, 0xbe3c28d5, v121
	v_add_f32_e32 v65, v88, v65
	v_mul_f32_e32 v155, 0xbf7ba420, v124
	v_fma_f32 v88, v106, s16, -v150
	v_add_f32_e32 v66, v88, v66
	v_mov_b32_e32 v88, v155
	v_fmac_f32_e32 v88, 0xbe3c28d5, v107
	;; [unrolled: 25-line block ×3, first 2 shown]
	v_mul_f32_e32 v163, 0xbf763a35, v123
	v_add_f32_e32 v166, v66, v67
	v_mul_f32_e32 v165, 0xbe8c1d8e, v126
	v_fma_f32 v66, v108, s17, -v163
	v_add_f32_e32 v75, v66, v75
	v_mov_b32_e32 v66, v165
	v_sub_f32_e32 v125, v59, v53
	v_fmac_f32_e32 v66, 0xbf763a35, v109
	v_add_f32_e32 v110, v52, v58
	v_add_f32_e32 v127, v53, v59
	v_mul_f32_e32 v152, 0x3f65296c, v125
	v_add_f32_e32 v76, v66, v76
	v_mul_f32_e32 v157, 0x3ee437d1, v127
	v_fma_f32 v66, v110, s18, -v152
	v_sub_f32_e32 v111, v58, v52
	v_add_f32_e32 v66, v66, v64
	v_mov_b32_e32 v64, v157
	v_fmac_f32_e32 v64, 0x3f65296c, v111
	v_mul_f32_e32 v164, 0xbe8c1d8e, v127
	v_add_f32_e32 v67, v64, v65
	v_mov_b32_e32 v65, v164
	v_mul_f32_e32 v161, 0xbf763a35, v125
	v_fmac_f32_e32 v65, 0xbf763a35, v111
	v_fma_f32 v64, v110, s17, -v161
	v_add_f32_e32 v65, v65, v166
	v_mul_f32_e32 v166, 0x3f7ee86f, v125
	v_add_f32_e32 v64, v64, v88
	v_mul_f32_e32 v167, 0x3dbcf732, v127
	v_fma_f32 v88, v110, s20, -v166
	v_add_f32_e32 v75, v88, v75
	v_mov_b32_e32 v88, v167
	v_fmac_f32_e32 v88, 0x3f7ee86f, v111
	v_add_f32_e32 v76, v88, v76
	s_barrier
	s_and_saveexec_b64 s[12:13], s[0:1]
	s_cbranch_execz .LBB0_17
; %bb.16:
	v_mul_f32_e32 v88, 0xbf1a4643, v96
	v_mul_f32_e32 v168, 0xbf4c4adb, v97
	;; [unrolled: 1-line block ×3, first 2 shown]
	v_add_f32_e32 v81, v88, v81
	v_mul_f32_e32 v174, 0x3f763a35, v99
	v_mul_f32_e32 v179, 0x3f6eb680, v100
	v_sub_f32_e32 v82, v82, v168
	v_add_f32_e32 v81, v73, v81
	v_add_f32_e32 v83, v173, v83
	v_mul_f32_e32 v180, 0xbeb8f4ab, v101
	v_mul_f32_e32 v185, 0xbf59a7d5, v102
	v_add_f32_e32 v82, v74, v82
	v_sub_f32_e32 v84, v84, v174
	v_add_f32_e32 v81, v83, v81
	v_add_f32_e32 v83, v179, v128
	v_mul_f32_e32 v171, 0xbf7ba420, v96
	v_mul_f32_e32 v186, 0xbf06c442, v103
	;; [unrolled: 1-line block ×3, first 2 shown]
	v_add_f32_e32 v82, v84, v82
	v_sub_f32_e32 v84, v130, v180
	v_add_f32_e32 v81, v83, v81
	v_add_f32_e32 v83, v185, v131
	v_mul_f32_e32 v177, 0x3f6eb680, v98
	v_mul_f32_e32 v192, 0x3f7ee86f, v105
	v_mul_f32_e32 v197, 0x3f3d2fb0, v106
	v_add_f32_e32 v77, v171, v77
	v_add_f32_e32 v82, v84, v82
	v_sub_f32_e32 v84, v134, v186
	v_add_f32_e32 v81, v83, v81
	v_add_f32_e32 v83, v191, v135
	v_mul_f32_e32 v183, 0xbf59a7d5, v100
	v_mul_f32_e32 v198, 0xbf2c7751, v107
	;; [unrolled: 1-line block ×3, first 2 shown]
	v_add_f32_e32 v77, v73, v77
	v_add_f32_e32 v136, v177, v136
	;; [unrolled: 1-line block ×3, first 2 shown]
	v_sub_f32_e32 v84, v139, v192
	v_add_f32_e32 v81, v83, v81
	v_add_f32_e32 v83, v197, v140
	v_mul_f32_e32 v189, 0x3f3d2fb0, v102
	v_mul_f32_e32 v204, 0xbe3c28d5, v109
	;; [unrolled: 1-line block ×3, first 2 shown]
	v_add_f32_e32 v77, v136, v77
	v_add_f32_e32 v136, v183, v142
	;; [unrolled: 1-line block ×3, first 2 shown]
	v_sub_f32_e32 v84, v145, v198
	v_add_f32_e32 v81, v83, v81
	v_add_f32_e32 v83, v203, v146
	v_mul_f32_e32 v195, 0xbf1a4643, v104
	v_mul_f32_e32 v210, 0x3f65296c, v111
	v_add_f32_e32 v77, v136, v77
	v_add_f32_e32 v136, v189, v148
	;; [unrolled: 1-line block ×3, first 2 shown]
	v_sub_f32_e32 v84, v151, v204
	v_add_f32_e32 v81, v83, v81
	v_add_f32_e32 v83, v209, v152
	v_mul_f32_e32 v88, 0xbe8c1d8e, v114
	v_mul_f32_e32 v201, 0x3ee437d1, v106
	v_add_f32_e32 v77, v136, v77
	v_add_f32_e32 v136, v195, v154
	;; [unrolled: 1-line block ×3, first 2 shown]
	v_sub_f32_e32 v84, v157, v210
	v_add_f32_e32 v81, v83, v81
	v_mov_b32_e32 v83, v88
	v_mul_f32_e32 v134, 0xbf59a7d5, v116
	v_mul_f32_e32 v207, 0xbe8c1d8e, v108
	v_add_f32_e32 v77, v136, v77
	v_add_f32_e32 v136, v201, v159
	;; [unrolled: 1-line block ×3, first 2 shown]
	v_fmac_f32_e32 v83, 0x3f763a35, v97
	v_mov_b32_e32 v84, v134
	v_mul_f32_e32 v213, 0x3dbcf732, v110
	v_add_f32_e32 v77, v136, v77
	v_add_f32_e32 v136, v207, v163
	;; [unrolled: 1-line block ×3, first 2 shown]
	v_fmac_f32_e32 v84, 0xbf06c442, v99
	v_mul_f32_e32 v135, 0x3f3d2fb0, v118
	v_mul_f32_e32 v170, 0xbf06c442, v97
	v_add_f32_e32 v77, v136, v77
	v_add_f32_e32 v136, v213, v166
	;; [unrolled: 1-line block ×3, first 2 shown]
	v_mov_b32_e32 v84, v135
	v_mul_f32_e32 v169, 0xbf59a7d5, v96
	v_mul_f32_e32 v176, 0x3f65296c, v99
	v_add_f32_e32 v77, v136, v77
	v_sub_f32_e32 v80, v80, v170
	v_fmac_f32_e32 v84, 0xbf2c7751, v101
	v_mul_f32_e32 v136, 0x3ee437d1, v120
	v_mul_f32_e32 v172, 0xbe3c28d5, v97
	;; [unrolled: 1-line block ×4, first 2 shown]
	v_add_f32_e32 v80, v74, v80
	v_sub_f32_e32 v132, v132, v176
	v_add_f32_e32 v79, v169, v79
	v_add_f32_e32 v83, v84, v83
	v_mov_b32_e32 v84, v136
	v_mul_f32_e32 v178, 0x3eb8f4ab, v99
	v_mul_f32_e32 v181, 0x3dbcf732, v100
	v_sub_f32_e32 v78, v78, v172
	v_add_f32_e32 v80, v132, v80
	v_sub_f32_e32 v132, v137, v182
	v_add_f32_e32 v79, v73, v79
	v_add_f32_e32 v129, v175, v129
	v_fmac_f32_e32 v84, 0x3f65296c, v103
	v_mul_f32_e32 v137, 0xbf7ba420, v122
	v_mul_f32_e32 v184, 0xbf06c442, v101
	;; [unrolled: 1-line block ×3, first 2 shown]
	v_add_f32_e32 v78, v74, v78
	v_sub_f32_e32 v141, v141, v178
	v_add_f32_e32 v79, v129, v79
	v_add_f32_e32 v129, v181, v133
	;; [unrolled: 1-line block ×3, first 2 shown]
	v_mov_b32_e32 v84, v137
	v_mul_f32_e32 v190, 0x3f2c7751, v103
	v_add_f32_e32 v78, v141, v78
	v_sub_f32_e32 v141, v147, v184
	v_add_f32_e32 v79, v129, v79
	v_add_f32_e32 v129, v187, v138
	v_fmac_f32_e32 v84, 0x3e3c28d5, v105
	v_mul_f32_e32 v138, 0x3dbcf732, v124
	v_mul_f32_e32 v196, 0xbf4c4adb, v105
	v_add_f32_e32 v78, v141, v78
	v_sub_f32_e32 v141, v153, v190
	v_add_f32_e32 v83, v84, v83
	v_mov_b32_e32 v84, v138
	v_mul_f32_e32 v202, 0x3f65296c, v107
	v_add_f32_e32 v78, v141, v78
	v_sub_f32_e32 v141, v158, v196
	v_fmac_f32_e32 v84, 0xbf7ee86f, v107
	v_mul_f32_e32 v139, 0x3f6eb680, v126
	v_mul_f32_e32 v208, 0xbf763a35, v109
	v_add_f32_e32 v78, v141, v78
	v_sub_f32_e32 v141, v162, v202
	v_add_f32_e32 v83, v84, v83
	v_mov_b32_e32 v84, v139
	v_mul_f32_e32 v214, 0x3f7ee86f, v111
	v_add_f32_e32 v78, v141, v78
	v_sub_f32_e32 v141, v165, v208
	v_fmac_f32_e32 v84, 0x3eb8f4ab, v109
	v_mul_f32_e32 v140, 0xbf1a4643, v127
	v_add_f32_e32 v78, v141, v78
	v_sub_f32_e32 v141, v167, v214
	v_add_f32_e32 v83, v84, v83
	v_mov_b32_e32 v84, v140
	v_add_f32_e32 v78, v141, v78
	v_fmac_f32_e32 v84, 0x3f4c4adb, v111
	v_mul_f32_e32 v141, 0xbf763a35, v112
	v_add_f32_e32 v84, v84, v83
	v_mov_b32_e32 v83, v141
	v_mul_f32_e32 v142, 0x3f06c442, v113
	v_mul_f32_e32 v188, 0x3f4c4adb, v103
	v_fmac_f32_e32 v83, 0xbe8c1d8e, v96
	v_mov_b32_e32 v128, v142
	v_add_f32_e32 v80, v132, v80
	v_sub_f32_e32 v132, v143, v188
	v_add_f32_e32 v83, v73, v83
	v_fmac_f32_e32 v128, 0xbf59a7d5, v98
	v_mul_f32_e32 v143, 0x3f2c7751, v115
	v_mul_f32_e32 v193, 0x3f6eb680, v104
	v_add_f32_e32 v83, v128, v83
	v_mov_b32_e32 v128, v143
	v_add_f32_e32 v79, v129, v79
	v_add_f32_e32 v129, v193, v144
	v_fmac_f32_e32 v128, 0x3f3d2fb0, v100
	v_mul_f32_e32 v144, 0xbf65296c, v117
	v_add_f32_e32 v83, v128, v83
	v_mov_b32_e32 v128, v144
	v_fmac_f32_e32 v128, 0x3ee437d1, v102
	v_mul_f32_e32 v145, 0xbe3c28d5, v119
	v_add_f32_e32 v83, v128, v83
	v_mov_b32_e32 v128, v145
	;; [unrolled: 4-line block ×4, first 2 shown]
	v_mul_f32_e32 v199, 0xbf7ba420, v106
	v_fmac_f32_e32 v128, 0x3f6eb680, v108
	v_mul_f32_e32 v148, 0xbf4c4adb, v125
	v_mul_f32_e32 v194, 0xbeb8f4ab, v105
	;; [unrolled: 1-line block ×3, first 2 shown]
	v_add_f32_e32 v79, v129, v79
	v_add_f32_e32 v129, v199, v150
	v_add_f32_e32 v83, v128, v83
	v_mov_b32_e32 v128, v148
	v_mul_f32_e32 v211, 0xbe8c1d8e, v110
	v_add_f32_e32 v80, v132, v80
	v_sub_f32_e32 v132, v149, v194
	v_add_f32_e32 v79, v129, v79
	v_add_f32_e32 v129, v205, v156
	v_fmac_f32_e32 v128, 0xbf1a4643, v110
	v_mul_f32_e32 v149, 0x3dbcf732, v114
	v_add_f32_e32 v79, v129, v79
	v_add_f32_e32 v129, v211, v161
	;; [unrolled: 1-line block ×3, first 2 shown]
	v_mov_b32_e32 v128, v149
	v_mul_f32_e32 v150, 0xbf7ba420, v116
	v_add_f32_e32 v79, v129, v79
	v_fmac_f32_e32 v128, 0x3f7ee86f, v97
	v_mov_b32_e32 v129, v150
	v_add_f32_e32 v128, v74, v128
	v_fmac_f32_e32 v129, 0x3e3c28d5, v99
	v_mul_f32_e32 v151, 0xbe8c1d8e, v118
	v_add_f32_e32 v128, v129, v128
	v_mov_b32_e32 v129, v151
	v_fmac_f32_e32 v129, 0xbf763a35, v101
	v_mul_f32_e32 v152, 0x3f6eb680, v120
	v_add_f32_e32 v128, v129, v128
	v_mov_b32_e32 v129, v152
	v_fmac_f32_e32 v129, 0xbeb8f4ab, v103
	v_mul_f32_e32 v153, 0x3ee437d1, v122
	v_add_f32_e32 v128, v129, v128
	v_mov_b32_e32 v129, v153
	v_fmac_f32_e32 v129, 0x3f65296c, v105
	v_mul_f32_e32 v154, 0xbf59a7d5, v124
	v_mul_f32_e32 v200, 0xbe3c28d5, v107
	v_add_f32_e32 v128, v129, v128
	v_mov_b32_e32 v129, v154
	v_add_f32_e32 v80, v132, v80
	v_sub_f32_e32 v132, v155, v200
	v_fmac_f32_e32 v129, 0x3f06c442, v107
	v_mul_f32_e32 v155, 0xbf1a4643, v126
	v_add_f32_e32 v128, v129, v128
	v_mov_b32_e32 v129, v155
	v_fmac_f32_e32 v129, 0xbf4c4adb, v109
	v_mul_f32_e32 v156, 0x3f3d2fb0, v127
	v_add_f32_e32 v128, v129, v128
	v_mov_b32_e32 v129, v156
	;; [unrolled: 4-line block ×3, first 2 shown]
	v_mul_f32_e32 v158, 0xbe3c28d5, v113
	v_fmac_f32_e32 v128, 0x3dbcf732, v96
	v_mov_b32_e32 v130, v158
	v_add_f32_e32 v128, v73, v128
	v_fmac_f32_e32 v130, 0xbf7ba420, v98
	v_mul_f32_e32 v159, 0x3f763a35, v115
	v_mul_f32_e32 v206, 0x3f2c7751, v109
	v_add_f32_e32 v128, v130, v128
	v_mov_b32_e32 v130, v159
	v_add_f32_e32 v80, v132, v80
	v_sub_f32_e32 v132, v160, v206
	v_fmac_f32_e32 v130, 0xbe8c1d8e, v100
	v_mul_f32_e32 v160, 0x3eb8f4ab, v117
	v_add_f32_e32 v128, v130, v128
	v_mov_b32_e32 v130, v160
	v_fmac_f32_e32 v130, 0x3f6eb680, v102
	v_mul_f32_e32 v161, 0xbf65296c, v119
	v_add_f32_e32 v128, v130, v128
	v_mov_b32_e32 v130, v161
	v_add_f32_e32 v45, v45, v74
	v_fmac_f32_e32 v130, 0x3ee437d1, v104
	v_mul_f32_e32 v162, 0xbf06c442, v121
	v_add_f32_e32 v45, v47, v45
	v_add_f32_e32 v128, v130, v128
	v_mov_b32_e32 v130, v162
	v_add_f32_e32 v45, v49, v45
	v_fmac_f32_e32 v130, 0xbf59a7d5, v106
	v_mul_f32_e32 v163, 0x3f4c4adb, v123
	v_add_f32_e32 v45, v51, v45
	v_mul_f32_e32 v212, 0xbf763a35, v111
	v_add_f32_e32 v128, v130, v128
	v_mov_b32_e32 v130, v163
	v_add_f32_e32 v45, v61, v45
	v_add_f32_e32 v80, v132, v80
	v_sub_f32_e32 v132, v164, v212
	v_fmac_f32_e32 v130, 0xbf1a4643, v108
	v_mul_f32_e32 v164, 0x3f2c7751, v125
	v_add_f32_e32 v45, v63, v45
	v_add_f32_e32 v128, v130, v128
	v_mov_b32_e32 v130, v164
	v_add_f32_e32 v45, v57, v45
	v_fmac_f32_e32 v130, 0x3f3d2fb0, v110
	v_mul_f32_e32 v165, 0x3ee437d1, v114
	v_add_f32_e32 v45, v59, v45
	v_add_f32_e32 v128, v130, v128
	v_mov_b32_e32 v130, v165
	v_mul_f32_e32 v166, 0xbf1a4643, v116
	v_add_f32_e32 v45, v53, v45
	v_fmac_f32_e32 v130, 0x3f65296c, v97
	v_mov_b32_e32 v131, v166
	v_add_f32_e32 v45, v55, v45
	v_add_f32_e32 v130, v74, v130
	v_fmac_f32_e32 v131, 0x3f4c4adb, v99
	v_mul_f32_e32 v167, 0xbf7ba420, v118
	v_add_f32_e32 v41, v41, v45
	v_add_f32_e32 v130, v131, v130
	v_mov_b32_e32 v131, v167
	v_add_f32_e32 v41, v72, v41
	v_fmac_f32_e32 v131, 0xbe3c28d5, v101
	v_mul_f32_e32 v168, 0xbe8c1d8e, v120
	v_add_f32_e32 v41, v70, v41
	v_add_f32_e32 v130, v131, v130
	v_mov_b32_e32 v131, v168
	;; [unrolled: 6-line block ×3, first 2 shown]
	v_add_f32_e32 v1, v3, v1
	v_add_f32_e32 v3, v44, v73
	v_fmac_f32_e32 v131, 0xbf2c7751, v105
	v_mul_f32_e32 v170, 0x3f6eb680, v124
	v_add_f32_e32 v3, v46, v3
	v_add_f32_e32 v130, v131, v130
	v_mov_b32_e32 v131, v170
	v_add_f32_e32 v3, v48, v3
	v_fmac_f32_e32 v131, 0x3eb8f4ab, v107
	v_mul_f32_e32 v171, 0x3dbcf732, v126
	v_add_f32_e32 v3, v50, v3
	v_add_f32_e32 v130, v131, v130
	v_mov_b32_e32 v131, v171
	;; [unrolled: 6-line block ×4, first 2 shown]
	v_mul_f32_e32 v174, 0xbf4c4adb, v113
	v_add_f32_e32 v3, v52, v3
	v_add_f32_e32 v80, v132, v80
	v_fmac_f32_e32 v130, 0x3ee437d1, v96
	v_mov_b32_e32 v132, v174
	v_add_f32_e32 v3, v54, v3
	v_add_f32_e32 v130, v73, v130
	v_fmac_f32_e32 v132, 0xbf1a4643, v98
	v_mul_f32_e32 v175, 0x3e3c28d5, v115
	v_add_f32_e32 v3, v40, v3
	v_add_f32_e32 v130, v132, v130
	v_mov_b32_e32 v132, v175
	v_add_f32_e32 v3, v71, v3
	v_fmac_f32_e32 v132, 0xbf7ba420, v100
	v_mul_f32_e32 v176, 0x3f763a35, v117
	v_add_f32_e32 v3, v69, v3
	v_add_f32_e32 v130, v132, v130
	v_mov_b32_e32 v132, v176
	v_add_f32_e32 v3, v42, v3
	v_fmac_f32_e32 v132, 0xbe8c1d8e, v102
	v_mul_f32_e32 v177, 0x3f2c7751, v119
	v_add_f32_e32 v0, v0, v3
	v_fmac_f32_e32 v88, 0xbf763a35, v97
	v_add_f32_e32 v130, v132, v130
	v_mov_b32_e32 v132, v177
	v_add_f32_e32 v0, v2, v0
	v_add_f32_e32 v2, v74, v88
	v_fmac_f32_e32 v134, 0x3f06c442, v99
	v_fmac_f32_e32 v132, 0x3f3d2fb0, v104
	v_mul_f32_e32 v178, 0xbeb8f4ab, v121
	v_add_f32_e32 v2, v134, v2
	v_fmac_f32_e32 v135, 0x3f2c7751, v101
	v_add_f32_e32 v130, v132, v130
	v_mov_b32_e32 v132, v178
	v_add_f32_e32 v2, v135, v2
	v_fmac_f32_e32 v136, 0xbf65296c, v103
	v_fmac_f32_e32 v132, 0x3f6eb680, v106
	v_mul_f32_e32 v179, 0xbf7ee86f, v123
	v_add_f32_e32 v2, v136, v2
	v_fmac_f32_e32 v137, 0xbe3c28d5, v105
	v_add_f32_e32 v130, v132, v130
	v_mov_b32_e32 v132, v179
	;; [unrolled: 8-line block ×3, first 2 shown]
	v_add_f32_e32 v2, v139, v2
	v_fmac_f32_e32 v140, 0xbf4c4adb, v111
	v_fmac_f32_e32 v132, 0xbf59a7d5, v110
	v_mul_f32_e32 v181, 0x3f3d2fb0, v114
	v_add_f32_e32 v3, v140, v2
	v_fma_f32 v2, v96, s17, -v141
	v_add_f32_e32 v130, v132, v130
	v_mov_b32_e32 v132, v181
	v_mul_f32_e32 v182, 0x3dbcf732, v116
	v_add_f32_e32 v2, v73, v2
	v_fma_f32 v40, v98, s15, -v142
	v_fmac_f32_e32 v132, 0x3f2c7751, v97
	v_mov_b32_e32 v133, v182
	v_add_f32_e32 v2, v40, v2
	v_fma_f32 v40, v100, s21, -v143
	v_add_f32_e32 v132, v74, v132
	v_fmac_f32_e32 v133, 0x3f7ee86f, v99
	v_mul_f32_e32 v183, 0xbf1a4643, v118
	v_add_f32_e32 v2, v40, v2
	v_fma_f32 v40, v102, s18, -v144
	v_add_f32_e32 v132, v133, v132
	v_mov_b32_e32 v133, v183
	v_add_f32_e32 v2, v40, v2
	v_fma_f32 v40, v104, s16, -v145
	v_fmac_f32_e32 v133, 0x3f4c4adb, v101
	v_mul_f32_e32 v184, 0xbf7ba420, v120
	v_add_f32_e32 v2, v40, v2
	v_fma_f32 v40, v106, s20, -v146
	v_add_f32_e32 v132, v133, v132
	v_mov_b32_e32 v133, v184
	v_add_f32_e32 v2, v40, v2
	v_fma_f32 v40, v108, s19, -v147
	v_fmac_f32_e32 v133, 0x3e3c28d5, v103
	v_mul_f32_e32 v185, 0xbf59a7d5, v122
	v_add_f32_e32 v2, v40, v2
	v_fma_f32 v40, v110, s14, -v148
	v_fmac_f32_e32 v149, 0xbf7ee86f, v97
	v_add_f32_e32 v132, v133, v132
	v_mov_b32_e32 v133, v185
	v_add_f32_e32 v2, v40, v2
	v_add_f32_e32 v40, v74, v149
	v_fmac_f32_e32 v150, 0xbe3c28d5, v99
	v_fmac_f32_e32 v133, 0xbf06c442, v105
	v_mul_f32_e32 v186, 0xbe8c1d8e, v124
	v_add_f32_e32 v40, v150, v40
	v_fmac_f32_e32 v151, 0x3f763a35, v101
	v_add_f32_e32 v132, v133, v132
	v_mov_b32_e32 v133, v186
	v_add_f32_e32 v40, v151, v40
	v_fmac_f32_e32 v152, 0x3eb8f4ab, v103
	v_fmac_f32_e32 v133, 0xbf763a35, v107
	v_mul_f32_e32 v187, 0x3ee437d1, v126
	v_add_f32_e32 v40, v152, v40
	v_fmac_f32_e32 v153, 0xbf65296c, v105
	v_add_f32_e32 v132, v133, v132
	v_mov_b32_e32 v133, v187
	;; [unrolled: 8-line block ×3, first 2 shown]
	v_add_f32_e32 v40, v155, v40
	v_fmac_f32_e32 v156, 0x3f2c7751, v111
	v_fmac_f32_e32 v133, 0xbeb8f4ab, v111
	v_mul_f32_e32 v189, 0xbf2c7751, v112
	v_add_f32_e32 v41, v156, v40
	v_fma_f32 v40, v96, s20, -v157
	v_add_f32_e32 v133, v133, v132
	v_mov_b32_e32 v132, v189
	v_mul_f32_e32 v190, 0xbf7ee86f, v113
	v_add_f32_e32 v40, v73, v40
	v_fma_f32 v42, v98, s16, -v158
	v_fmac_f32_e32 v132, 0x3f3d2fb0, v96
	v_mov_b32_e32 v191, v190
	v_add_f32_e32 v40, v42, v40
	v_fma_f32 v42, v100, s17, -v159
	v_add_f32_e32 v132, v73, v132
	v_fmac_f32_e32 v191, 0x3dbcf732, v98
	v_add_f32_e32 v40, v42, v40
	v_fma_f32 v42, v102, s19, -v160
	v_add_f32_e32 v132, v191, v132
	v_mul_f32_e32 v191, 0xbf4c4adb, v115
	v_add_f32_e32 v40, v42, v40
	v_fma_f32 v42, v104, s18, -v161
	v_mov_b32_e32 v192, v191
	v_add_f32_e32 v40, v42, v40
	v_fma_f32 v42, v106, s15, -v162
	v_fmac_f32_e32 v192, 0xbf1a4643, v100
	v_add_f32_e32 v40, v42, v40
	v_fma_f32 v42, v108, s14, -v163
	v_add_f32_e32 v132, v192, v132
	v_mul_f32_e32 v192, 0xbe3c28d5, v117
	v_add_f32_e32 v40, v42, v40
	v_fma_f32 v42, v110, s21, -v164
	v_fmac_f32_e32 v165, 0xbf65296c, v97
	v_mov_b32_e32 v193, v192
	v_add_f32_e32 v40, v42, v40
	v_add_f32_e32 v42, v74, v165
	v_fmac_f32_e32 v166, 0xbf4c4adb, v99
	v_fmac_f32_e32 v193, 0xbf7ba420, v102
	v_add_f32_e32 v42, v166, v42
	v_fmac_f32_e32 v167, 0x3e3c28d5, v101
	v_add_f32_e32 v132, v193, v132
	v_mul_f32_e32 v193, 0x3f06c442, v119
	v_add_f32_e32 v42, v167, v42
	v_fmac_f32_e32 v168, 0x3f763a35, v103
	v_mov_b32_e32 v194, v193
	v_add_f32_e32 v42, v168, v42
	v_fmac_f32_e32 v169, 0x3f2c7751, v105
	v_fmac_f32_e32 v194, 0xbf59a7d5, v104
	v_add_f32_e32 v42, v169, v42
	v_fmac_f32_e32 v170, 0xbeb8f4ab, v107
	v_add_f32_e32 v132, v194, v132
	v_mul_f32_e32 v194, 0x3f763a35, v121
	v_add_f32_e32 v42, v170, v42
	v_fmac_f32_e32 v171, 0xbf7ee86f, v109
	v_mov_b32_e32 v195, v194
	v_add_f32_e32 v42, v171, v42
	v_fmac_f32_e32 v172, 0xbf06c442, v111
	v_fmac_f32_e32 v195, 0xbe8c1d8e, v106
	v_add_f32_e32 v43, v172, v42
	v_fma_f32 v42, v96, s18, -v173
	v_add_f32_e32 v132, v195, v132
	v_mul_f32_e32 v195, 0x3f65296c, v123
	v_add_f32_e32 v42, v73, v42
	v_fma_f32 v44, v98, s14, -v174
	v_mov_b32_e32 v196, v195
	v_add_f32_e32 v42, v44, v42
	v_fma_f32 v44, v100, s16, -v175
	v_fmac_f32_e32 v196, 0x3ee437d1, v108
	v_add_f32_e32 v42, v44, v42
	v_fma_f32 v44, v102, s17, -v176
	v_add_f32_e32 v132, v196, v132
	v_mul_f32_e32 v196, 0x3eb8f4ab, v125
	v_add_f32_e32 v42, v44, v42
	v_fma_f32 v44, v104, s21, -v177
	v_mov_b32_e32 v197, v196
	v_add_f32_e32 v42, v44, v42
	v_fma_f32 v44, v106, s19, -v178
	v_fmac_f32_e32 v197, 0x3f6eb680, v110
	v_add_f32_e32 v42, v44, v42
	v_fma_f32 v44, v108, s20, -v179
	v_add_f32_e32 v132, v197, v132
	v_mul_f32_e32 v197, 0x3f6eb680, v114
	v_add_f32_e32 v42, v44, v42
	v_fma_f32 v44, v110, s15, -v180
	v_fmac_f32_e32 v181, 0xbf2c7751, v97
	v_mov_b32_e32 v114, v197
	v_mul_f32_e32 v116, 0x3f3d2fb0, v116
	v_add_f32_e32 v42, v44, v42
	v_add_f32_e32 v44, v74, v181
	v_fmac_f32_e32 v182, 0xbf7ee86f, v99
	v_fmac_f32_e32 v114, 0x3eb8f4ab, v97
	v_mov_b32_e32 v198, v116
	v_add_f32_e32 v44, v182, v44
	v_fmac_f32_e32 v183, 0xbf4c4adb, v101
	v_add_f32_e32 v114, v74, v114
	v_fmac_f32_e32 v198, 0x3f2c7751, v99
	v_mul_f32_e32 v118, 0x3ee437d1, v118
	v_add_f32_e32 v44, v183, v44
	v_fmac_f32_e32 v184, 0xbe3c28d5, v103
	v_add_f32_e32 v114, v198, v114
	v_mov_b32_e32 v198, v118
	v_add_f32_e32 v44, v184, v44
	v_fmac_f32_e32 v185, 0x3f06c442, v105
	v_fmac_f32_e32 v198, 0x3f65296c, v101
	v_mul_f32_e32 v120, 0x3dbcf732, v120
	v_add_f32_e32 v44, v185, v44
	v_fmac_f32_e32 v186, 0x3f763a35, v107
	v_add_f32_e32 v114, v198, v114
	v_mov_b32_e32 v198, v120
	v_add_f32_e32 v44, v186, v44
	v_fmac_f32_e32 v187, 0x3f65296c, v109
	v_fmac_f32_e32 v198, 0x3f7ee86f, v103
	v_mul_f32_e32 v122, 0xbe8c1d8e, v122
	v_add_f32_e32 v44, v187, v44
	v_fmac_f32_e32 v188, 0x3eb8f4ab, v111
	v_add_f32_e32 v114, v198, v114
	v_mov_b32_e32 v198, v122
	v_add_f32_e32 v45, v188, v44
	v_fma_f32 v44, v96, s21, -v189
	v_fmac_f32_e32 v198, 0x3f763a35, v105
	v_mul_f32_e32 v124, 0xbf1a4643, v124
	v_add_f32_e32 v44, v73, v44
	v_fma_f32 v46, v98, s20, -v190
	v_add_f32_e32 v114, v198, v114
	v_mov_b32_e32 v198, v124
	v_add_f32_e32 v44, v46, v44
	v_fma_f32 v46, v100, s14, -v191
	v_fmac_f32_e32 v198, 0x3f4c4adb, v107
	v_mul_f32_e32 v126, 0xbf59a7d5, v126
	v_add_f32_e32 v44, v46, v44
	v_fma_f32 v46, v102, s16, -v192
	;; [unrolled: 8-line block ×4, first 2 shown]
	v_fmac_f32_e32 v197, 0xbeb8f4ab, v97
	v_add_f32_e32 v114, v198, v114
	v_mov_b32_e32 v198, v112
	v_mul_f32_e32 v199, 0xbf2c7751, v113
	v_add_f32_e32 v44, v46, v44
	v_add_f32_e32 v46, v74, v197
	v_fmac_f32_e32 v116, 0xbf2c7751, v99
	v_fmac_f32_e32 v198, 0x3f6eb680, v96
	v_mov_b32_e32 v113, v199
	v_add_f32_e32 v46, v116, v46
	v_fmac_f32_e32 v118, 0xbf65296c, v101
	v_add_f32_e32 v198, v73, v198
	v_fmac_f32_e32 v113, 0x3f3d2fb0, v98
	v_mul_f32_e32 v115, 0xbf65296c, v115
	v_add_f32_e32 v46, v118, v46
	v_fmac_f32_e32 v120, 0xbf7ee86f, v103
	v_add_f32_e32 v113, v113, v198
	v_mov_b32_e32 v198, v115
	v_add_f32_e32 v46, v120, v46
	v_fmac_f32_e32 v122, 0xbf763a35, v105
	v_fmac_f32_e32 v198, 0x3ee437d1, v100
	v_mul_f32_e32 v117, 0xbf7ee86f, v117
	v_add_f32_e32 v46, v122, v46
	v_fmac_f32_e32 v124, 0xbf4c4adb, v107
	v_add_f32_e32 v113, v198, v113
	v_mov_b32_e32 v198, v117
	v_add_f32_e32 v46, v124, v46
	v_fmac_f32_e32 v126, 0xbf06c442, v109
	v_fmac_f32_e32 v198, 0x3dbcf732, v102
	v_mul_f32_e32 v119, 0xbf763a35, v119
	v_add_f32_e32 v46, v126, v46
	v_fmac_f32_e32 v127, 0xbe3c28d5, v111
	v_add_f32_e32 v113, v198, v113
	v_mov_b32_e32 v198, v119
	v_add_f32_e32 v47, v127, v46
	v_fma_f32 v46, v96, s19, -v112
	v_fmac_f32_e32 v198, 0xbe8c1d8e, v104
	v_mul_f32_e32 v121, 0xbf4c4adb, v121
	v_add_f32_e32 v46, v73, v46
	v_fma_f32 v48, v98, s21, -v199
	v_add_f32_e32 v113, v198, v113
	v_mov_b32_e32 v198, v121
	v_add_f32_e32 v46, v48, v46
	v_fma_f32 v48, v100, s18, -v115
	v_fmac_f32_e32 v198, 0xbf1a4643, v106
	v_mul_f32_e32 v123, 0xbf06c442, v123
	v_add_f32_e32 v46, v48, v46
	v_fma_f32 v48, v102, s20, -v117
	;; [unrolled: 8-line block ×3, first 2 shown]
	v_add_f32_e32 v113, v198, v113
	v_mov_b32_e32 v198, v125
	v_add_f32_e32 v46, v48, v46
	v_fma_f32 v48, v108, s15, -v123
	v_fmac_f32_e32 v198, 0xbf7ba420, v110
	v_add_f32_e32 v46, v48, v46
	v_fma_f32 v48, v110, s16, -v125
	v_add_f32_e32 v113, v198, v113
	v_add_f32_e32 v46, v48, v46
	v_lshl_add_u32 v48, v215, 3, v87
	ds_write2_b64 v48, v[0:1], v[113:114] offset1:1
	ds_write2_b64 v48, v[132:133], v[130:131] offset0:2 offset1:3
	ds_write2_b64 v48, v[128:129], v[83:84] offset0:4 offset1:5
	;; [unrolled: 1-line block ×7, first 2 shown]
	ds_write_b64 v48, v[46:47] offset:128
.LBB0_17:
	s_or_b64 exec, exec, s[12:13]
	v_add_u32_e32 v44, 0x800, v90
	s_waitcnt lgkmcnt(0)
	s_barrier
	ds_read2_b64 v[40:43], v90 offset1:51
	ds_read2_b64 v[0:3], v90 offset0:102 offset1:187
	ds_read2_b64 v[48:51], v44 offset0:118 offset1:169
	v_add_u32_e32 v44, 0x400, v90
	ds_read2_b64 v[44:47], v44 offset0:110 offset1:161
	ds_read_b64 v[52:53], v90 offset:3808
	s_and_saveexec_b64 s[12:13], s[2:3]
	s_cbranch_execz .LBB0_19
; %bb.18:
	v_add_u32_e32 v54, 0xa00, v90
	ds_read_b64 v[75:76], v90 offset:1224
	ds_read2_b64 v[64:67], v54 offset0:20 offset1:207
.LBB0_19:
	s_or_b64 exec, exec, s[12:13]
	s_waitcnt lgkmcnt(3)
	v_mul_f32_e32 v54, v17, v3
	v_fmac_f32_e32 v54, v16, v2
	v_mul_f32_e32 v2, v17, v2
	v_fma_f32 v16, v16, v3, -v2
	s_waitcnt lgkmcnt(2)
	v_mul_f32_e32 v17, v19, v49
	v_mul_f32_e32 v2, v19, v48
	v_fmac_f32_e32 v17, v18, v48
	v_fma_f32 v18, v18, v49, -v2
	s_waitcnt lgkmcnt(1)
	v_mul_f32_e32 v19, v13, v45
	v_mul_f32_e32 v2, v13, v44
	v_fmac_f32_e32 v19, v12, v44
	v_fma_f32 v44, v12, v45, -v2
	v_mul_f32_e32 v2, v15, v50
	v_mul_f32_e32 v45, v15, v51
	v_fma_f32 v15, v14, v51, -v2
	v_mul_f32_e32 v48, v9, v47
	v_mul_f32_e32 v2, v9, v46
	v_add_f32_e32 v9, v16, v18
	v_fmac_f32_e32 v45, v14, v50
	v_fma_f32 v9, -0.5, v9, v41
	v_fmac_f32_e32 v48, v8, v46
	v_fma_f32 v46, v8, v47, -v2
	s_waitcnt lgkmcnt(0)
	v_mul_f32_e32 v47, v11, v53
	v_mul_f32_e32 v2, v11, v52
	v_sub_f32_e32 v12, v54, v17
	v_mov_b32_e32 v11, v9
	v_add_f32_e32 v13, v19, v45
	v_fmac_f32_e32 v11, 0x3f5db3d7, v12
	v_fmac_f32_e32 v9, 0xbf5db3d7, v12
	v_add_f32_e32 v12, v42, v19
	v_fma_f32 v42, -0.5, v13, v42
	v_sub_f32_e32 v13, v44, v15
	v_mov_b32_e32 v14, v42
	v_add_f32_e32 v3, v54, v17
	v_fmac_f32_e32 v14, 0xbf5db3d7, v13
	v_fmac_f32_e32 v42, 0x3f5db3d7, v13
	v_add_f32_e32 v13, v43, v44
	v_fma_f32 v8, -0.5, v3, v40
	v_add_f32_e32 v13, v13, v15
	v_add_f32_e32 v15, v44, v15
	v_fmac_f32_e32 v47, v10, v52
	v_fma_f32 v49, v10, v53, -v2
	v_add_f32_e32 v2, v40, v54
	v_sub_f32_e32 v3, v16, v18
	v_mov_b32_e32 v10, v8
	v_fmac_f32_e32 v43, -0.5, v15
	v_add_f32_e32 v2, v2, v17
	v_fmac_f32_e32 v10, 0xbf5db3d7, v3
	v_fmac_f32_e32 v8, 0x3f5db3d7, v3
	v_add_f32_e32 v3, v41, v16
	v_sub_f32_e32 v16, v19, v45
	v_mov_b32_e32 v15, v43
	v_add_f32_e32 v17, v48, v47
	v_fmac_f32_e32 v15, 0x3f5db3d7, v16
	v_fmac_f32_e32 v43, 0xbf5db3d7, v16
	v_add_f32_e32 v16, v0, v48
	v_fma_f32 v0, -0.5, v17, v0
	v_add_f32_e32 v3, v3, v18
	v_sub_f32_e32 v17, v46, v49
	v_mov_b32_e32 v18, v0
	v_add_f32_e32 v19, v46, v49
	v_fmac_f32_e32 v18, 0xbf5db3d7, v17
	v_fmac_f32_e32 v0, 0x3f5db3d7, v17
	v_add_f32_e32 v17, v1, v46
	v_fmac_f32_e32 v1, -0.5, v19
	v_sub_f32_e32 v40, v48, v47
	v_mov_b32_e32 v19, v1
	v_add_f32_e32 v12, v12, v45
	v_add_f32_e32 v16, v16, v47
	;; [unrolled: 1-line block ×3, first 2 shown]
	v_fmac_f32_e32 v19, 0x3f5db3d7, v40
	v_fmac_f32_e32 v1, 0xbf5db3d7, v40
	s_barrier
	ds_write2_b64 v93, v[2:3], v[10:11] offset1:17
	ds_write_b64 v93, v[8:9] offset:272
	ds_write2_b64 v94, v[12:13], v[14:15] offset1:17
	ds_write_b64 v94, v[42:43] offset:272
	;; [unrolled: 2-line block ×3, first 2 shown]
	s_and_saveexec_b64 s[12:13], s[2:3]
	s_cbranch_execz .LBB0_21
; %bb.20:
	v_mul_f32_e32 v0, v5, v64
	v_fma_f32 v2, v4, v65, -v0
	v_mul_f32_e32 v0, v7, v66
	v_fma_f32 v8, v6, v67, -v0
	v_mul_f32_e32 v9, v5, v65
	v_add_f32_e32 v0, v2, v8
	v_fmac_f32_e32 v9, v4, v64
	v_mul_f32_e32 v4, v7, v67
	v_fma_f32 v1, -0.5, v0, v76
	v_fmac_f32_e32 v4, v6, v66
	v_sub_f32_e32 v0, v9, v4
	v_mov_b32_e32 v3, v1
	v_fmac_f32_e32 v3, 0xbf5db3d7, v0
	v_fmac_f32_e32 v1, 0x3f5db3d7, v0
	v_add_f32_e32 v0, v76, v2
	v_add_f32_e32 v5, v0, v8
	;; [unrolled: 1-line block ×3, first 2 shown]
	v_fma_f32 v0, -0.5, v0, v75
	v_sub_f32_e32 v6, v2, v8
	v_mov_b32_e32 v2, v0
	v_fmac_f32_e32 v2, 0x3f5db3d7, v6
	v_fmac_f32_e32 v0, 0xbf5db3d7, v6
	v_add_f32_e32 v6, v75, v9
	v_add_f32_e32 v4, v6, v4
	v_add_u32_sdwa v6, v92, v91 dst_sel:DWORD dst_unused:UNUSED_PAD src0_sel:DWORD src1_sel:BYTE_0
	v_lshl_add_u32 v6, v6, 3, v87
	ds_write2_b64 v6, v[4:5], v[0:1] offset1:17
	ds_write_b64 v6, v[2:3] offset:272
.LBB0_21:
	s_or_b64 exec, exec, s[12:13]
	s_waitcnt lgkmcnt(0)
	s_barrier
	ds_read2_b64 v[0:3], v90 offset1:51
	ds_read_b64 v[40:41], v90 offset:816
	ds_read2_b64 v[4:7], v90 offset0:153 offset1:204
	v_add_u32_e32 v8, 0x400, v90
	ds_read2_b64 v[8:11], v8 offset0:127 offset1:178
	s_waitcnt lgkmcnt(3)
	v_mul_f32_e32 v42, v33, v3
	v_fmac_f32_e32 v42, v32, v2
	v_mul_f32_e32 v2, v33, v2
	v_add_u32_e32 v16, 0x800, v90
	v_fma_f32 v32, v32, v3, -v2
	s_waitcnt lgkmcnt(2)
	v_mul_f32_e32 v33, v35, v41
	v_mul_f32_e32 v2, v35, v40
	ds_read2_b64 v[12:15], v16 offset0:101 offset1:152
	ds_read2_b64 v[16:19], v16 offset0:203 offset1:254
	v_fmac_f32_e32 v33, v34, v40
	v_fma_f32 v34, v34, v41, -v2
	s_waitcnt lgkmcnt(3)
	v_mul_f32_e32 v35, v29, v5
	v_mul_f32_e32 v2, v29, v4
	v_fmac_f32_e32 v35, v28, v4
	v_fma_f32 v4, v28, v5, -v2
	v_mul_f32_e32 v5, v31, v7
	v_mul_f32_e32 v2, v31, v6
	v_fmac_f32_e32 v5, v30, v6
	v_fma_f32 v6, v30, v7, -v2
	s_waitcnt lgkmcnt(2)
	v_mul_f32_e32 v7, v25, v9
	v_mul_f32_e32 v2, v25, v8
	v_fmac_f32_e32 v7, v24, v8
	v_fma_f32 v8, v24, v9, -v2
	v_mul_f32_e32 v9, v27, v11
	v_mul_f32_e32 v2, v27, v10
	v_fmac_f32_e32 v9, v26, v10
	v_fma_f32 v10, v26, v11, -v2
	s_waitcnt lgkmcnt(1)
	v_mul_f32_e32 v11, v21, v13
	v_mul_f32_e32 v2, v21, v12
	v_add_f32_e32 v3, v1, v32
	v_fmac_f32_e32 v11, v20, v12
	v_fma_f32 v12, v20, v13, -v2
	v_mul_f32_e32 v13, v23, v15
	v_mul_f32_e32 v2, v23, v14
	v_add_f32_e32 v3, v3, v34
	v_fmac_f32_e32 v13, v22, v14
	v_fma_f32 v14, v22, v15, -v2
	s_waitcnt lgkmcnt(0)
	v_mul_f32_e32 v15, v37, v17
	v_mul_f32_e32 v2, v37, v16
	v_add_f32_e32 v3, v3, v4
	v_fmac_f32_e32 v15, v36, v16
	v_fma_f32 v16, v36, v17, -v2
	v_mul_f32_e32 v17, v39, v19
	v_mul_f32_e32 v2, v39, v18
	v_add_f32_e32 v3, v3, v6
	v_fmac_f32_e32 v17, v38, v18
	v_fma_f32 v18, v38, v19, -v2
	v_add_f32_e32 v2, v0, v42
	v_add_f32_e32 v3, v3, v8
	;; [unrolled: 1-line block ×13, first 2 shown]
	v_sub_f32_e32 v18, v32, v18
	v_add_f32_e32 v2, v2, v11
	v_mul_f32_e32 v21, 0xbf0a6770, v18
	v_mul_f32_e32 v25, 0xbf68dda4, v18
	;; [unrolled: 1-line block ×5, first 2 shown]
	v_add_f32_e32 v2, v2, v13
	v_add_f32_e32 v19, v42, v17
	s_mov_b32 s12, 0x3f575c64
	v_mov_b32_e32 v22, v21
	s_mov_b32 s2, 0x3ed4b147
	v_mov_b32_e32 v26, v25
	s_mov_b32 s3, 0xbe11bafb
	v_mov_b32_e32 v30, v29
	s_mov_b32 s13, 0xbf27a4f4
	v_mov_b32_e32 v37, v36
	s_mov_b32 s14, 0xbf75a155
	v_mov_b32_e32 v40, v18
	v_add_f32_e32 v2, v2, v15
	v_fmac_f32_e32 v22, 0x3f575c64, v19
	v_mul_f32_e32 v23, 0x3f575c64, v20
	v_fma_f32 v21, v19, s12, -v21
	v_fmac_f32_e32 v26, 0x3ed4b147, v19
	v_mul_f32_e32 v27, 0x3ed4b147, v20
	v_fma_f32 v25, v19, s2, -v25
	v_fmac_f32_e32 v30, 0xbe11bafb, v19
	v_mul_f32_e32 v31, 0xbe11bafb, v20
	v_fma_f32 v29, v19, s3, -v29
	v_fmac_f32_e32 v37, 0xbf27a4f4, v19
	v_mul_f32_e32 v38, 0xbf27a4f4, v20
	v_fma_f32 v36, v19, s13, -v36
	v_fmac_f32_e32 v40, 0xbf75a155, v19
	v_mul_f32_e32 v20, 0xbf75a155, v20
	v_fma_f32 v18, v19, s14, -v18
	v_add_f32_e32 v2, v2, v17
	v_sub_f32_e32 v17, v42, v17
	v_add_f32_e32 v22, v0, v22
	v_mov_b32_e32 v24, v23
	v_add_f32_e32 v21, v0, v21
	v_add_f32_e32 v26, v0, v26
	v_mov_b32_e32 v28, v27
	v_add_f32_e32 v25, v0, v25
	;; [unrolled: 3-line block ×5, first 2 shown]
	v_add_f32_e32 v18, v34, v16
	v_sub_f32_e32 v16, v34, v16
	v_fmac_f32_e32 v24, 0x3f0a6770, v17
	v_fmac_f32_e32 v23, 0xbf0a6770, v17
	;; [unrolled: 1-line block ×10, first 2 shown]
	v_mul_f32_e32 v19, 0xbf68dda4, v16
	v_add_f32_e32 v24, v1, v24
	v_add_f32_e32 v23, v1, v23
	;; [unrolled: 1-line block ×11, first 2 shown]
	v_mov_b32_e32 v20, v19
	v_fmac_f32_e32 v20, 0x3ed4b147, v17
	v_sub_f32_e32 v15, v33, v15
	v_add_f32_e32 v20, v20, v22
	v_mul_f32_e32 v22, 0x3ed4b147, v18
	v_mov_b32_e32 v33, v22
	v_fma_f32 v19, v17, s2, -v19
	v_fmac_f32_e32 v22, 0xbf68dda4, v15
	v_add_f32_e32 v19, v19, v21
	v_add_f32_e32 v21, v22, v23
	v_mul_f32_e32 v22, 0xbf4178ce, v16
	v_mov_b32_e32 v23, v22
	v_fmac_f32_e32 v23, 0xbf27a4f4, v17
	v_fmac_f32_e32 v33, 0x3f68dda4, v15
	v_add_f32_e32 v23, v23, v26
	v_mul_f32_e32 v26, 0xbf27a4f4, v18
	v_add_f32_e32 v24, v33, v24
	v_mov_b32_e32 v33, v26
	v_fma_f32 v22, v17, s13, -v22
	v_fmac_f32_e32 v26, 0xbf4178ce, v15
	v_add_f32_e32 v22, v22, v25
	v_add_f32_e32 v25, v26, v27
	v_mul_f32_e32 v26, 0x3e903f40, v16
	v_mov_b32_e32 v27, v26
	v_fmac_f32_e32 v27, 0xbf75a155, v17
	v_fmac_f32_e32 v33, 0x3f4178ce, v15
	v_add_f32_e32 v27, v27, v30
	v_mul_f32_e32 v30, 0xbf75a155, v18
	v_add_f32_e32 v28, v33, v28
	v_mov_b32_e32 v33, v30
	v_fma_f32 v26, v17, s14, -v26
	v_fmac_f32_e32 v30, 0x3e903f40, v15
	v_add_f32_e32 v26, v26, v29
	v_add_f32_e32 v29, v30, v31
	v_mul_f32_e32 v30, 0x3f7d64f0, v16
	v_mov_b32_e32 v31, v30
	v_fma_f32 v30, v17, s3, -v30
	v_mul_f32_e32 v16, 0x3f0a6770, v16
	v_fmac_f32_e32 v33, 0xbe903f40, v15
	v_add_f32_e32 v30, v30, v36
	v_mov_b32_e32 v36, v16
	v_fma_f32 v16, v17, s12, -v16
	v_add_f32_e32 v32, v33, v32
	v_fmac_f32_e32 v31, 0xbe11bafb, v17
	v_mul_f32_e32 v33, 0xbe11bafb, v18
	v_mul_f32_e32 v18, 0x3f575c64, v18
	v_add_f32_e32 v0, v16, v0
	v_add_f32_e32 v16, v4, v14
	v_sub_f32_e32 v4, v4, v14
	v_add_f32_e32 v31, v31, v37
	v_mov_b32_e32 v34, v33
	v_mov_b32_e32 v37, v18
	v_mul_f32_e32 v14, 0xbf7d64f0, v4
	v_fmac_f32_e32 v34, 0xbf7d64f0, v15
	v_fmac_f32_e32 v33, 0x3f7d64f0, v15
	;; [unrolled: 1-line block ×5, first 2 shown]
	v_add_f32_e32 v15, v35, v13
	v_mov_b32_e32 v17, v14
	v_add_f32_e32 v1, v18, v1
	v_sub_f32_e32 v13, v35, v13
	v_fmac_f32_e32 v17, 0xbe11bafb, v15
	v_mul_f32_e32 v18, 0xbe11bafb, v16
	v_fma_f32 v14, v15, s3, -v14
	v_add_f32_e32 v17, v17, v20
	v_mov_b32_e32 v20, v18
	v_add_f32_e32 v14, v14, v19
	v_fmac_f32_e32 v18, 0xbf7d64f0, v13
	v_mul_f32_e32 v19, 0x3e903f40, v4
	v_add_f32_e32 v18, v18, v21
	v_mov_b32_e32 v21, v19
	v_fmac_f32_e32 v21, 0xbf75a155, v15
	v_fmac_f32_e32 v20, 0x3f7d64f0, v13
	v_add_f32_e32 v21, v21, v23
	v_mul_f32_e32 v23, 0xbf75a155, v16
	v_add_f32_e32 v20, v20, v24
	v_mov_b32_e32 v24, v23
	v_fma_f32 v19, v15, s14, -v19
	v_fmac_f32_e32 v23, 0x3e903f40, v13
	v_add_f32_e32 v19, v19, v22
	v_add_f32_e32 v22, v23, v25
	v_mul_f32_e32 v23, 0x3f68dda4, v4
	v_mov_b32_e32 v25, v23
	v_fmac_f32_e32 v25, 0x3ed4b147, v15
	v_fmac_f32_e32 v24, 0xbe903f40, v13
	v_add_f32_e32 v25, v25, v27
	v_mul_f32_e32 v27, 0x3ed4b147, v16
	v_add_f32_e32 v24, v24, v28
	v_mov_b32_e32 v28, v27
	v_fma_f32 v23, v15, s2, -v23
	v_fmac_f32_e32 v27, 0x3f68dda4, v13
	v_add_f32_e32 v23, v23, v26
	v_add_f32_e32 v26, v27, v29
	v_mul_f32_e32 v27, 0xbf0a6770, v4
	v_mov_b32_e32 v29, v27
	v_fmac_f32_e32 v29, 0x3f575c64, v15
	v_fmac_f32_e32 v28, 0xbf68dda4, v13
	v_add_f32_e32 v29, v29, v31
	v_mul_f32_e32 v31, 0x3f575c64, v16
	v_add_f32_e32 v33, v33, v38
	v_add_f32_e32 v28, v28, v32
	v_mov_b32_e32 v32, v31
	v_fma_f32 v27, v15, s12, -v27
	v_fmac_f32_e32 v31, 0xbf0a6770, v13
	v_mul_f32_e32 v16, 0xbf27a4f4, v16
	v_add_f32_e32 v27, v27, v30
	v_add_f32_e32 v30, v31, v33
	v_mul_f32_e32 v4, 0xbf4178ce, v4
	v_mov_b32_e32 v33, v16
	v_fmac_f32_e32 v32, 0x3f0a6770, v13
	v_mov_b32_e32 v31, v4
	v_fmac_f32_e32 v33, 0x3f4178ce, v13
	v_fma_f32 v4, v15, s13, -v4
	v_fmac_f32_e32 v16, 0xbf4178ce, v13
	v_add_f32_e32 v13, v6, v12
	v_sub_f32_e32 v6, v6, v12
	v_fmac_f32_e32 v31, 0xbf27a4f4, v15
	v_add_f32_e32 v0, v4, v0
	v_add_f32_e32 v4, v5, v11
	v_sub_f32_e32 v5, v5, v11
	v_mul_f32_e32 v11, 0xbf4178ce, v6
	v_mul_f32_e32 v15, 0xbf27a4f4, v13
	v_add_f32_e32 v1, v16, v1
	v_mov_b32_e32 v12, v11
	v_mov_b32_e32 v16, v15
	v_fma_f32 v11, v4, s13, -v11
	v_fmac_f32_e32 v15, 0xbf4178ce, v5
	v_fmac_f32_e32 v12, 0xbf27a4f4, v4
	v_add_f32_e32 v11, v11, v14
	v_add_f32_e32 v14, v15, v18
	v_mul_f32_e32 v15, 0x3f7d64f0, v6
	v_add_f32_e32 v12, v12, v17
	v_mov_b32_e32 v17, v15
	v_fma_f32 v15, v4, s3, -v15
	v_fmac_f32_e32 v16, 0x3f4178ce, v5
	v_fmac_f32_e32 v17, 0xbe11bafb, v4
	v_mul_f32_e32 v18, 0xbe11bafb, v13
	v_add_f32_e32 v15, v15, v19
	v_mul_f32_e32 v19, 0xbf0a6770, v6
	v_add_f32_e32 v16, v16, v20
	v_add_f32_e32 v17, v17, v21
	v_mov_b32_e32 v20, v18
	v_fmac_f32_e32 v18, 0x3f7d64f0, v5
	v_mov_b32_e32 v21, v19
	v_fma_f32 v19, v4, s12, -v19
	v_fmac_f32_e32 v20, 0xbf7d64f0, v5
	v_add_f32_e32 v18, v18, v22
	v_fmac_f32_e32 v21, 0x3f575c64, v4
	v_mul_f32_e32 v22, 0x3f575c64, v13
	v_add_f32_e32 v19, v19, v23
	v_mul_f32_e32 v23, 0xbe903f40, v6
	v_add_f32_e32 v20, v20, v24
	v_add_f32_e32 v21, v21, v25
	v_mov_b32_e32 v24, v22
	v_fmac_f32_e32 v22, 0xbf0a6770, v5
	v_mov_b32_e32 v25, v23
	v_fma_f32 v23, v4, s14, -v23
	v_mul_f32_e32 v6, 0x3f68dda4, v6
	v_fmac_f32_e32 v24, 0x3f0a6770, v5
	v_add_f32_e32 v22, v22, v26
	v_mul_f32_e32 v26, 0xbf75a155, v13
	v_add_f32_e32 v23, v23, v27
	v_mov_b32_e32 v27, v6
	v_add_f32_e32 v34, v34, v39
	v_add_f32_e32 v24, v24, v28
	v_fmac_f32_e32 v25, 0xbf75a155, v4
	v_mov_b32_e32 v28, v26
	v_fmac_f32_e32 v26, 0xbe903f40, v5
	v_fmac_f32_e32 v27, 0x3ed4b147, v4
	v_mul_f32_e32 v13, 0x3ed4b147, v13
	v_fma_f32 v4, v4, s2, -v6
	v_sub_f32_e32 v35, v8, v10
	v_add_f32_e32 v37, v37, v41
	v_add_f32_e32 v32, v32, v34
	v_add_f32_e32 v25, v25, v29
	v_fmac_f32_e32 v28, 0x3e903f40, v5
	v_add_f32_e32 v26, v26, v30
	v_mov_b32_e32 v29, v13
	v_add_f32_e32 v30, v4, v0
	v_mul_f32_e32 v4, 0xbe903f40, v35
	v_add_f32_e32 v33, v33, v37
	v_add_f32_e32 v28, v28, v32
	v_fmac_f32_e32 v29, 0xbf68dda4, v5
	v_add_f32_e32 v32, v7, v9
	v_mov_b32_e32 v0, v4
	v_add_f32_e32 v36, v36, v40
	v_add_f32_e32 v29, v29, v33
	;; [unrolled: 1-line block ×3, first 2 shown]
	v_fmac_f32_e32 v0, 0xbf75a155, v32
	v_add_f32_e32 v31, v31, v36
	v_fmac_f32_e32 v13, 0x3f68dda4, v5
	v_sub_f32_e32 v34, v7, v9
	v_add_f32_e32 v0, v0, v12
	v_mul_f32_e32 v5, 0xbf75a155, v33
	v_mul_f32_e32 v8, 0x3f0a6770, v35
	v_mul_f32_e32 v9, 0x3f575c64, v33
	v_mul_f32_e32 v12, 0xbf4178ce, v35
	v_add_f32_e32 v27, v27, v31
	v_add_f32_e32 v31, v13, v1
	v_mov_b32_e32 v1, v5
	v_mov_b32_e32 v6, v8
	;; [unrolled: 1-line block ×4, first 2 shown]
	v_fmac_f32_e32 v1, 0x3e903f40, v34
	v_fmac_f32_e32 v6, 0x3f575c64, v32
	;; [unrolled: 1-line block ×4, first 2 shown]
	v_add_f32_e32 v1, v1, v16
	v_fma_f32 v4, v32, s14, -v4
	v_fmac_f32_e32 v5, 0xbe903f40, v34
	v_add_f32_e32 v6, v6, v17
	v_add_f32_e32 v7, v7, v20
	v_fma_f32 v8, v32, s12, -v8
	v_fmac_f32_e32 v9, 0x3f0a6770, v34
	v_add_f32_e32 v10, v10, v21
	v_mul_f32_e32 v13, 0xbf27a4f4, v33
	v_fma_f32 v12, v32, s13, -v12
	v_mul_f32_e32 v16, 0x3f68dda4, v35
	v_mul_f32_e32 v17, 0x3ed4b147, v33
	;; [unrolled: 1-line block ×4, first 2 shown]
	v_add_f32_e32 v4, v4, v11
	v_add_f32_e32 v5, v5, v14
	;; [unrolled: 1-line block ×4, first 2 shown]
	v_mov_b32_e32 v11, v13
	v_add_f32_e32 v12, v12, v19
	v_mov_b32_e32 v14, v16
	v_mov_b32_e32 v15, v17
	;; [unrolled: 1-line block ×4, first 2 shown]
	v_fmac_f32_e32 v11, 0x3f4178ce, v34
	v_fmac_f32_e32 v13, 0xbf4178ce, v34
	;; [unrolled: 1-line block ×4, first 2 shown]
	v_fma_f32 v16, v32, s2, -v16
	v_fmac_f32_e32 v17, 0x3f68dda4, v34
	v_fmac_f32_e32 v18, 0xbe11bafb, v32
	;; [unrolled: 1-line block ×3, first 2 shown]
	v_fma_f32 v20, v32, s3, -v20
	v_fmac_f32_e32 v21, 0xbf7d64f0, v34
	v_add_f32_e32 v11, v11, v24
	v_add_f32_e32 v13, v13, v22
	;; [unrolled: 1-line block ×10, first 2 shown]
	ds_write_b64 v89, v[2:3]
	ds_write2_b64 v89, v[0:1], v[6:7] offset0:51 offset1:102
	ds_write2_b64 v89, v[10:11], v[14:15] offset0:153 offset1:204
	v_add_u32_e32 v1, 0x400, v89
	v_add_u32_e32 v0, 0x800, v89
	ds_write2_b64 v1, v[18:19], v[20:21] offset0:127 offset1:178
	ds_write2_b64 v0, v[16:17], v[12:13] offset0:101 offset1:152
	;; [unrolled: 1-line block ×3, first 2 shown]
	s_waitcnt lgkmcnt(0)
	s_barrier
	s_and_b64 exec, exec, s[0:1]
	s_cbranch_execz .LBB0_23
; %bb.22:
	global_load_dwordx2 v[2:3], v85, s[8:9]
	ds_read_b64 v[6:7], v89
	v_mad_u64_u32 v[4:5], s[0:1], s6, v68, 0
	v_mad_u64_u32 v[8:9], s[0:1], s4, v86, 0
	s_waitcnt lgkmcnt(0)
	v_mad_u64_u32 v[10:11], s[2:3], s7, v68, v[5:6]
	s_mov_b32 s0, 0x4bc01d34
	s_mov_b32 s1, 0x3f5d347a
	v_mad_u64_u32 v[11:12], s[2:3], s5, v86, v[9:10]
	v_mov_b32_e32 v13, s11
	s_mul_i32 s3, s5, 0x108
	v_mov_b32_e32 v9, v11
	v_lshlrev_b64 v[8:9], 3, v[8:9]
	s_mul_hi_u32 s5, s4, 0x108
	s_mul_i32 s2, s4, 0x108
	s_add_i32 s3, s5, s3
	s_movk_i32 s4, 0x1000
	v_mov_b32_e32 v11, s3
	s_waitcnt vmcnt(0)
	v_mul_f32_e32 v5, v7, v3
	v_mul_f32_e32 v3, v6, v3
	v_fmac_f32_e32 v5, v6, v2
	v_fma_f32 v6, v2, v7, -v3
	v_cvt_f64_f32_e32 v[2:3], v5
	v_cvt_f64_f32_e32 v[6:7], v6
	v_mov_b32_e32 v5, v10
	v_lshlrev_b64 v[4:5], 3, v[4:5]
	v_mul_f64 v[2:3], v[2:3], s[0:1]
	v_mul_f64 v[6:7], v[6:7], s[0:1]
	v_add_co_u32_e32 v4, vcc, s10, v4
	v_addc_co_u32_e32 v5, vcc, v13, v5, vcc
	v_cvt_f32_f64_e32 v2, v[2:3]
	v_cvt_f32_f64_e32 v3, v[6:7]
	v_add_co_u32_e32 v6, vcc, v4, v8
	v_addc_co_u32_e32 v7, vcc, v5, v9, vcc
	global_store_dwordx2 v[6:7], v[2:3], off
	global_load_dwordx2 v[8:9], v85, s[8:9] offset:264
	ds_read2_b64 v[2:5], v89 offset0:33 offset1:66
	v_add_co_u32_e32 v6, vcc, s2, v6
	s_waitcnt vmcnt(0) lgkmcnt(0)
	v_mul_f32_e32 v10, v3, v9
	v_mul_f32_e32 v9, v2, v9
	v_fmac_f32_e32 v10, v2, v8
	v_fma_f32 v8, v8, v3, -v9
	v_cvt_f64_f32_e32 v[2:3], v10
	v_cvt_f64_f32_e32 v[8:9], v8
	v_mov_b32_e32 v10, s3
	v_addc_co_u32_e32 v7, vcc, v7, v10, vcc
	v_mul_f64 v[2:3], v[2:3], s[0:1]
	v_mul_f64 v[8:9], v[8:9], s[0:1]
	v_cvt_f32_f64_e32 v2, v[2:3]
	v_cvt_f32_f64_e32 v3, v[8:9]
	global_store_dwordx2 v[6:7], v[2:3], off
	global_load_dwordx2 v[2:3], v85, s[8:9] offset:528
	v_add_co_u32_e32 v6, vcc, s2, v6
	s_waitcnt vmcnt(0)
	v_mul_f32_e32 v8, v5, v3
	v_mul_f32_e32 v3, v4, v3
	v_fmac_f32_e32 v8, v4, v2
	v_fma_f32 v4, v2, v5, -v3
	v_cvt_f64_f32_e32 v[2:3], v8
	v_cvt_f64_f32_e32 v[4:5], v4
	v_mov_b32_e32 v8, s3
	v_addc_co_u32_e32 v7, vcc, v7, v8, vcc
	v_mul_f64 v[2:3], v[2:3], s[0:1]
	v_mul_f64 v[4:5], v[4:5], s[0:1]
	v_cvt_f32_f64_e32 v2, v[2:3]
	v_cvt_f32_f64_e32 v3, v[4:5]
	global_store_dwordx2 v[6:7], v[2:3], off
	global_load_dwordx2 v[8:9], v85, s[8:9] offset:792
	ds_read2_b64 v[2:5], v89 offset0:99 offset1:132
	v_add_co_u32_e32 v6, vcc, s2, v6
	s_waitcnt vmcnt(0) lgkmcnt(0)
	v_mul_f32_e32 v10, v3, v9
	v_mul_f32_e32 v9, v2, v9
	v_fmac_f32_e32 v10, v2, v8
	v_fma_f32 v8, v8, v3, -v9
	v_cvt_f64_f32_e32 v[2:3], v10
	v_cvt_f64_f32_e32 v[8:9], v8
	v_mov_b32_e32 v10, s3
	v_addc_co_u32_e32 v7, vcc, v7, v10, vcc
	v_mul_f64 v[2:3], v[2:3], s[0:1]
	v_mul_f64 v[8:9], v[8:9], s[0:1]
	v_cvt_f32_f64_e32 v2, v[2:3]
	v_cvt_f32_f64_e32 v3, v[8:9]
	global_store_dwordx2 v[6:7], v[2:3], off
	global_load_dwordx2 v[2:3], v85, s[8:9] offset:1056
	v_add_co_u32_e32 v6, vcc, s2, v6
	s_waitcnt vmcnt(0)
	v_mul_f32_e32 v8, v5, v3
	v_mul_f32_e32 v3, v4, v3
	v_fmac_f32_e32 v8, v4, v2
	v_fma_f32 v4, v2, v5, -v3
	v_cvt_f64_f32_e32 v[2:3], v8
	v_cvt_f64_f32_e32 v[4:5], v4
	v_mov_b32_e32 v8, s3
	v_addc_co_u32_e32 v7, vcc, v7, v8, vcc
	v_mul_f64 v[2:3], v[2:3], s[0:1]
	v_mul_f64 v[4:5], v[4:5], s[0:1]
	v_cvt_f32_f64_e32 v2, v[2:3]
	v_cvt_f32_f64_e32 v3, v[4:5]
	global_store_dwordx2 v[6:7], v[2:3], off
	global_load_dwordx2 v[8:9], v85, s[8:9] offset:1320
	ds_read2_b64 v[2:5], v89 offset0:165 offset1:198
	v_add_co_u32_e32 v6, vcc, s2, v6
	s_waitcnt vmcnt(0) lgkmcnt(0)
	v_mul_f32_e32 v10, v3, v9
	v_mul_f32_e32 v9, v2, v9
	v_fmac_f32_e32 v10, v2, v8
	v_fma_f32 v8, v8, v3, -v9
	v_cvt_f64_f32_e32 v[2:3], v10
	v_cvt_f64_f32_e32 v[8:9], v8
	v_mov_b32_e32 v10, s3
	v_addc_co_u32_e32 v7, vcc, v7, v10, vcc
	v_mul_f64 v[2:3], v[2:3], s[0:1]
	v_mul_f64 v[8:9], v[8:9], s[0:1]
	v_cvt_f32_f64_e32 v2, v[2:3]
	v_cvt_f32_f64_e32 v3, v[8:9]
	global_store_dwordx2 v[6:7], v[2:3], off
	global_load_dwordx2 v[2:3], v85, s[8:9] offset:1584
	s_waitcnt vmcnt(0)
	v_mul_f32_e32 v8, v5, v3
	v_mul_f32_e32 v3, v4, v3
	v_fmac_f32_e32 v8, v4, v2
	v_fma_f32 v4, v2, v5, -v3
	v_cvt_f64_f32_e32 v[2:3], v8
	v_cvt_f64_f32_e32 v[4:5], v4
	v_mov_b32_e32 v8, s3
	v_mul_f64 v[2:3], v[2:3], s[0:1]
	v_mul_f64 v[4:5], v[4:5], s[0:1]
	v_cvt_f32_f64_e32 v2, v[2:3]
	v_cvt_f32_f64_e32 v3, v[4:5]
	v_add_co_u32_e32 v5, vcc, s2, v6
	v_addc_co_u32_e32 v6, vcc, v7, v8, vcc
	global_store_dwordx2 v[5:6], v[2:3], off
	global_load_dwordx2 v[7:8], v85, s[8:9] offset:1848
	ds_read2_b64 v[1:4], v1 offset0:103 offset1:136
	v_add_co_u32_e32 v5, vcc, s2, v5
	s_waitcnt vmcnt(0) lgkmcnt(0)
	v_mul_f32_e32 v9, v2, v8
	v_mul_f32_e32 v8, v1, v8
	v_fmac_f32_e32 v9, v1, v7
	v_fma_f32 v7, v7, v2, -v8
	v_cvt_f64_f32_e32 v[1:2], v9
	v_cvt_f64_f32_e32 v[7:8], v7
	v_mov_b32_e32 v9, s3
	v_addc_co_u32_e32 v6, vcc, v6, v9, vcc
	v_mul_f64 v[1:2], v[1:2], s[0:1]
	v_mul_f64 v[7:8], v[7:8], s[0:1]
	v_cvt_f32_f64_e32 v1, v[1:2]
	v_cvt_f32_f64_e32 v2, v[7:8]
	global_store_dwordx2 v[5:6], v[1:2], off
	global_load_dwordx2 v[1:2], v85, s[8:9] offset:2112
	v_add_co_u32_e32 v5, vcc, s2, v5
	s_waitcnt vmcnt(0)
	v_mul_f32_e32 v7, v4, v2
	v_mul_f32_e32 v2, v3, v2
	v_fmac_f32_e32 v7, v3, v1
	v_fma_f32 v3, v1, v4, -v2
	v_cvt_f64_f32_e32 v[1:2], v7
	v_cvt_f64_f32_e32 v[3:4], v3
	v_mov_b32_e32 v7, s3
	v_addc_co_u32_e32 v6, vcc, v6, v7, vcc
	v_mul_f64 v[1:2], v[1:2], s[0:1]
	v_mul_f64 v[3:4], v[3:4], s[0:1]
	v_cvt_f32_f64_e32 v1, v[1:2]
	v_cvt_f32_f64_e32 v2, v[3:4]
	global_store_dwordx2 v[5:6], v[1:2], off
	global_load_dwordx2 v[7:8], v85, s[8:9] offset:2376
	ds_read2_b64 v[1:4], v0 offset0:41 offset1:74
	v_add_co_u32_e32 v5, vcc, s2, v5
	s_waitcnt vmcnt(0) lgkmcnt(0)
	v_mul_f32_e32 v9, v2, v8
	v_mul_f32_e32 v8, v1, v8
	v_fmac_f32_e32 v9, v1, v7
	v_fma_f32 v7, v7, v2, -v8
	v_cvt_f64_f32_e32 v[1:2], v9
	v_cvt_f64_f32_e32 v[7:8], v7
	v_mov_b32_e32 v9, s3
	v_addc_co_u32_e32 v6, vcc, v6, v9, vcc
	v_mul_f64 v[1:2], v[1:2], s[0:1]
	v_mul_f64 v[7:8], v[7:8], s[0:1]
	v_cvt_f32_f64_e32 v1, v[1:2]
	v_cvt_f32_f64_e32 v2, v[7:8]
	global_store_dwordx2 v[5:6], v[1:2], off
	global_load_dwordx2 v[1:2], v85, s[8:9] offset:2640
	v_add_co_u32_e32 v5, vcc, s2, v5
	s_waitcnt vmcnt(0)
	v_mul_f32_e32 v7, v4, v2
	v_mul_f32_e32 v2, v3, v2
	v_fmac_f32_e32 v7, v3, v1
	v_fma_f32 v3, v1, v4, -v2
	v_cvt_f64_f32_e32 v[1:2], v7
	v_cvt_f64_f32_e32 v[3:4], v3
	v_mov_b32_e32 v7, s3
	v_addc_co_u32_e32 v6, vcc, v6, v7, vcc
	v_mul_f64 v[1:2], v[1:2], s[0:1]
	v_mul_f64 v[3:4], v[3:4], s[0:1]
	v_cvt_f32_f64_e32 v1, v[1:2]
	v_cvt_f32_f64_e32 v2, v[3:4]
	global_store_dwordx2 v[5:6], v[1:2], off
	global_load_dwordx2 v[7:8], v85, s[8:9] offset:2904
	ds_read2_b64 v[1:4], v0 offset0:107 offset1:140
	v_add_co_u32_e32 v5, vcc, s2, v5
	s_waitcnt vmcnt(0) lgkmcnt(0)
	v_mul_f32_e32 v9, v2, v8
	v_mul_f32_e32 v8, v1, v8
	v_fmac_f32_e32 v9, v1, v7
	v_fma_f32 v7, v7, v2, -v8
	v_cvt_f64_f32_e32 v[1:2], v9
	v_cvt_f64_f32_e32 v[7:8], v7
	v_mov_b32_e32 v9, s3
	v_addc_co_u32_e32 v6, vcc, v6, v9, vcc
	v_mul_f64 v[1:2], v[1:2], s[0:1]
	v_mul_f64 v[7:8], v[7:8], s[0:1]
	v_cvt_f32_f64_e32 v1, v[1:2]
	v_cvt_f32_f64_e32 v2, v[7:8]
	global_store_dwordx2 v[5:6], v[1:2], off
	global_load_dwordx2 v[1:2], v85, s[8:9] offset:3168
	s_waitcnt vmcnt(0)
	v_mul_f32_e32 v7, v4, v2
	v_mul_f32_e32 v2, v3, v2
	v_fmac_f32_e32 v7, v3, v1
	v_fma_f32 v3, v1, v4, -v2
	v_cvt_f64_f32_e32 v[1:2], v7
	v_cvt_f64_f32_e32 v[3:4], v3
	v_mov_b32_e32 v7, s3
	v_mul_f64 v[1:2], v[1:2], s[0:1]
	v_mul_f64 v[3:4], v[3:4], s[0:1]
	v_cvt_f32_f64_e32 v1, v[1:2]
	v_cvt_f32_f64_e32 v2, v[3:4]
	v_add_co_u32_e32 v4, vcc, s2, v5
	v_addc_co_u32_e32 v5, vcc, v6, v7, vcc
	global_store_dwordx2 v[4:5], v[1:2], off
	global_load_dwordx2 v[6:7], v85, s[8:9] offset:3432
	ds_read2_b64 v[0:3], v0 offset0:173 offset1:206
	v_add_co_u32_e32 v4, vcc, s2, v4
	s_waitcnt vmcnt(0) lgkmcnt(0)
	v_mul_f32_e32 v8, v1, v7
	v_mul_f32_e32 v7, v0, v7
	v_fmac_f32_e32 v8, v0, v6
	v_fma_f32 v6, v6, v1, -v7
	v_cvt_f64_f32_e32 v[0:1], v8
	v_cvt_f64_f32_e32 v[6:7], v6
	v_mov_b32_e32 v8, s3
	v_addc_co_u32_e32 v5, vcc, v5, v8, vcc
	v_mul_f64 v[0:1], v[0:1], s[0:1]
	v_mul_f64 v[6:7], v[6:7], s[0:1]
	v_cvt_f32_f64_e32 v0, v[0:1]
	v_cvt_f32_f64_e32 v1, v[6:7]
	global_store_dwordx2 v[4:5], v[0:1], off
	global_load_dwordx2 v[0:1], v85, s[8:9] offset:3696
	v_add_co_u32_e32 v4, vcc, s2, v4
	s_waitcnt vmcnt(0)
	v_mul_f32_e32 v6, v3, v1
	v_mul_f32_e32 v1, v2, v1
	v_fmac_f32_e32 v6, v2, v0
	v_fma_f32 v2, v0, v3, -v1
	v_cvt_f64_f32_e32 v[0:1], v6
	v_cvt_f64_f32_e32 v[2:3], v2
	v_mov_b32_e32 v6, s3
	v_addc_co_u32_e32 v5, vcc, v5, v6, vcc
	v_mul_f64 v[0:1], v[0:1], s[0:1]
	v_mul_f64 v[2:3], v[2:3], s[0:1]
	v_add_co_u32_e32 v9, vcc, s8, v85
	v_cvt_f32_f64_e32 v0, v[0:1]
	v_cvt_f32_f64_e32 v1, v[2:3]
	global_store_dwordx2 v[4:5], v[0:1], off
	global_load_dwordx2 v[6:7], v85, s[8:9] offset:3960
	v_add_u32_e32 v0, 0xc00, v89
	ds_read2_b64 v[0:3], v0 offset0:111 offset1:144
	s_waitcnt vmcnt(0) lgkmcnt(0)
	v_mul_f32_e32 v8, v1, v7
	v_mul_f32_e32 v7, v0, v7
	v_fmac_f32_e32 v8, v0, v6
	v_fma_f32 v6, v6, v1, -v7
	v_cvt_f64_f32_e32 v[0:1], v8
	v_cvt_f64_f32_e32 v[6:7], v6
	v_mov_b32_e32 v8, s9
	v_addc_co_u32_e32 v10, vcc, 0, v8, vcc
	v_mul_f64 v[0:1], v[0:1], s[0:1]
	v_mul_f64 v[6:7], v[6:7], s[0:1]
	v_add_co_u32_e32 v8, vcc, s4, v9
	v_addc_co_u32_e32 v9, vcc, 0, v10, vcc
	v_add_co_u32_e32 v4, vcc, s2, v4
	v_cvt_f32_f64_e32 v0, v[0:1]
	v_cvt_f32_f64_e32 v1, v[6:7]
	v_addc_co_u32_e32 v5, vcc, v5, v11, vcc
	global_store_dwordx2 v[4:5], v[0:1], off
	global_load_dwordx2 v[0:1], v[8:9], off offset:128
	s_waitcnt vmcnt(0)
	v_mul_f32_e32 v6, v3, v1
	v_mul_f32_e32 v1, v2, v1
	v_fmac_f32_e32 v6, v2, v0
	v_fma_f32 v2, v0, v3, -v1
	v_cvt_f64_f32_e32 v[0:1], v6
	v_cvt_f64_f32_e32 v[2:3], v2
	v_mov_b32_e32 v6, s3
	v_mul_f64 v[0:1], v[0:1], s[0:1]
	v_mul_f64 v[2:3], v[2:3], s[0:1]
	v_cvt_f32_f64_e32 v0, v[0:1]
	v_cvt_f32_f64_e32 v1, v[2:3]
	v_add_co_u32_e32 v2, vcc, s2, v4
	v_addc_co_u32_e32 v3, vcc, v5, v6, vcc
	global_store_dwordx2 v[2:3], v[0:1], off
.LBB0_23:
	s_endpgm
	.section	.rodata,"a",@progbits
	.p2align	6, 0x0
	.amdhsa_kernel bluestein_single_back_len561_dim1_sp_op_CI_CI
		.amdhsa_group_segment_fixed_size 22440
		.amdhsa_private_segment_fixed_size 8
		.amdhsa_kernarg_size 104
		.amdhsa_user_sgpr_count 6
		.amdhsa_user_sgpr_private_segment_buffer 1
		.amdhsa_user_sgpr_dispatch_ptr 0
		.amdhsa_user_sgpr_queue_ptr 0
		.amdhsa_user_sgpr_kernarg_segment_ptr 1
		.amdhsa_user_sgpr_dispatch_id 0
		.amdhsa_user_sgpr_flat_scratch_init 0
		.amdhsa_user_sgpr_private_segment_size 0
		.amdhsa_uses_dynamic_stack 0
		.amdhsa_system_sgpr_private_segment_wavefront_offset 1
		.amdhsa_system_sgpr_workgroup_id_x 1
		.amdhsa_system_sgpr_workgroup_id_y 0
		.amdhsa_system_sgpr_workgroup_id_z 0
		.amdhsa_system_sgpr_workgroup_info 0
		.amdhsa_system_vgpr_workitem_id 0
		.amdhsa_next_free_vgpr 256
		.amdhsa_next_free_sgpr 28
		.amdhsa_reserve_vcc 1
		.amdhsa_reserve_flat_scratch 0
		.amdhsa_float_round_mode_32 0
		.amdhsa_float_round_mode_16_64 0
		.amdhsa_float_denorm_mode_32 3
		.amdhsa_float_denorm_mode_16_64 3
		.amdhsa_dx10_clamp 1
		.amdhsa_ieee_mode 1
		.amdhsa_fp16_overflow 0
		.amdhsa_exception_fp_ieee_invalid_op 0
		.amdhsa_exception_fp_denorm_src 0
		.amdhsa_exception_fp_ieee_div_zero 0
		.amdhsa_exception_fp_ieee_overflow 0
		.amdhsa_exception_fp_ieee_underflow 0
		.amdhsa_exception_fp_ieee_inexact 0
		.amdhsa_exception_int_div_zero 0
	.end_amdhsa_kernel
	.text
.Lfunc_end0:
	.size	bluestein_single_back_len561_dim1_sp_op_CI_CI, .Lfunc_end0-bluestein_single_back_len561_dim1_sp_op_CI_CI
                                        ; -- End function
	.section	.AMDGPU.csdata,"",@progbits
; Kernel info:
; codeLenInByte = 20840
; NumSgprs: 32
; NumVgprs: 256
; ScratchSize: 8
; MemoryBound: 0
; FloatMode: 240
; IeeeMode: 1
; LDSByteSize: 22440 bytes/workgroup (compile time only)
; SGPRBlocks: 3
; VGPRBlocks: 63
; NumSGPRsForWavesPerEU: 32
; NumVGPRsForWavesPerEU: 256
; Occupancy: 1
; WaveLimiterHint : 1
; COMPUTE_PGM_RSRC2:SCRATCH_EN: 1
; COMPUTE_PGM_RSRC2:USER_SGPR: 6
; COMPUTE_PGM_RSRC2:TRAP_HANDLER: 0
; COMPUTE_PGM_RSRC2:TGID_X_EN: 1
; COMPUTE_PGM_RSRC2:TGID_Y_EN: 0
; COMPUTE_PGM_RSRC2:TGID_Z_EN: 0
; COMPUTE_PGM_RSRC2:TIDIG_COMP_CNT: 0
	.type	__hip_cuid_213bc1a6baeae73f,@object ; @__hip_cuid_213bc1a6baeae73f
	.section	.bss,"aw",@nobits
	.globl	__hip_cuid_213bc1a6baeae73f
__hip_cuid_213bc1a6baeae73f:
	.byte	0                               ; 0x0
	.size	__hip_cuid_213bc1a6baeae73f, 1

	.ident	"AMD clang version 19.0.0git (https://github.com/RadeonOpenCompute/llvm-project roc-6.4.0 25133 c7fe45cf4b819c5991fe208aaa96edf142730f1d)"
	.section	".note.GNU-stack","",@progbits
	.addrsig
	.addrsig_sym __hip_cuid_213bc1a6baeae73f
	.amdgpu_metadata
---
amdhsa.kernels:
  - .args:
      - .actual_access:  read_only
        .address_space:  global
        .offset:         0
        .size:           8
        .value_kind:     global_buffer
      - .actual_access:  read_only
        .address_space:  global
        .offset:         8
        .size:           8
        .value_kind:     global_buffer
      - .actual_access:  read_only
        .address_space:  global
        .offset:         16
        .size:           8
        .value_kind:     global_buffer
      - .actual_access:  read_only
        .address_space:  global
        .offset:         24
        .size:           8
        .value_kind:     global_buffer
      - .actual_access:  read_only
        .address_space:  global
        .offset:         32
        .size:           8
        .value_kind:     global_buffer
      - .offset:         40
        .size:           8
        .value_kind:     by_value
      - .address_space:  global
        .offset:         48
        .size:           8
        .value_kind:     global_buffer
      - .address_space:  global
        .offset:         56
        .size:           8
        .value_kind:     global_buffer
      - .address_space:  global
        .offset:         64
        .size:           8
        .value_kind:     global_buffer
      - .address_space:  global
        .offset:         72
        .size:           8
        .value_kind:     global_buffer
      - .offset:         80
        .size:           4
        .value_kind:     by_value
      - .address_space:  global
        .offset:         88
        .size:           8
        .value_kind:     global_buffer
      - .address_space:  global
        .offset:         96
        .size:           8
        .value_kind:     global_buffer
    .group_segment_fixed_size: 22440
    .kernarg_segment_align: 8
    .kernarg_segment_size: 104
    .language:       OpenCL C
    .language_version:
      - 2
      - 0
    .max_flat_workgroup_size: 255
    .name:           bluestein_single_back_len561_dim1_sp_op_CI_CI
    .private_segment_fixed_size: 8
    .sgpr_count:     32
    .sgpr_spill_count: 0
    .symbol:         bluestein_single_back_len561_dim1_sp_op_CI_CI.kd
    .uniform_work_group_size: 1
    .uses_dynamic_stack: false
    .vgpr_count:     256
    .vgpr_spill_count: 1
    .wavefront_size: 64
amdhsa.target:   amdgcn-amd-amdhsa--gfx906
amdhsa.version:
  - 1
  - 2
...

	.end_amdgpu_metadata
